;; amdgpu-corpus repo=ROCm/rocFFT kind=compiled arch=gfx1030 opt=O3
	.text
	.amdgcn_target "amdgcn-amd-amdhsa--gfx1030"
	.amdhsa_code_object_version 6
	.protected	bluestein_single_back_len1122_dim1_half_op_CI_CI ; -- Begin function bluestein_single_back_len1122_dim1_half_op_CI_CI
	.globl	bluestein_single_back_len1122_dim1_half_op_CI_CI
	.p2align	8
	.type	bluestein_single_back_len1122_dim1_half_op_CI_CI,@function
bluestein_single_back_len1122_dim1_half_op_CI_CI: ; @bluestein_single_back_len1122_dim1_half_op_CI_CI
; %bb.0:
	s_load_dwordx4 s[0:3], s[4:5], 0x28
	v_mul_u32_u24_e32 v1, 0x283, v0
	v_mov_b32_e32 v17, 0
	v_lshrrev_b32_e32 v1, 16, v1
	v_lshl_add_u32 v16, s6, 1, v1
	s_waitcnt lgkmcnt(0)
	v_cmp_gt_u64_e32 vcc_lo, s[0:1], v[16:17]
	s_and_saveexec_b32 s0, vcc_lo
	s_cbranch_execz .LBB0_23
; %bb.1:
	v_mul_lo_u16 v2, 0x66, v1
	s_clause 0x1
	s_load_dwordx2 s[8:9], s[4:5], 0x0
	s_load_dwordx2 s[10:11], s[4:5], 0x38
	v_and_b32_e32 v1, 1, v1
	v_sub_nc_u16 v0, v0, v2
	v_cmp_eq_u32_e32 vcc_lo, 1, v1
	v_and_b32_e32 v37, 0xffff, v0
	v_cndmask_b32_e64 v23, 0, 0x462, vcc_lo
	v_cmp_gt_u16_e32 vcc_lo, 0x42, v0
	v_lshlrev_b32_e32 v36, 2, v37
	v_lshlrev_b32_e32 v39, 2, v23
	s_and_saveexec_b32 s1, vcc_lo
	s_cbranch_execz .LBB0_3
; %bb.2:
	s_load_dwordx2 s[6:7], s[4:5], 0x18
	s_waitcnt lgkmcnt(0)
	s_load_dwordx4 s[12:15], s[6:7], 0x0
	s_waitcnt lgkmcnt(0)
	v_mad_u64_u32 v[0:1], null, s14, v16, 0
	v_mad_u64_u32 v[2:3], null, s12, v37, 0
	s_mul_i32 s6, s13, 0x108
	s_mul_hi_u32 s7, s12, 0x108
	v_mad_u64_u32 v[4:5], null, s15, v16, v[1:2]
	v_mad_u64_u32 v[5:6], null, s13, v37, v[3:4]
	v_mov_b32_e32 v1, v4
	v_lshlrev_b64 v[0:1], 2, v[0:1]
	v_mov_b32_e32 v3, v5
	v_add_co_u32 v0, s0, s2, v0
	v_lshlrev_b64 v[2:3], 2, v[2:3]
	v_add_co_ci_u32_e64 v1, s0, s3, v1, s0
	s_mul_i32 s2, s12, 0x108
	s_add_i32 s3, s7, s6
	v_add_co_u32 v0, s0, v0, v2
	v_add_co_ci_u32_e64 v1, s0, v1, v3, s0
	v_add_co_u32 v2, s0, v0, s2
	v_add_co_ci_u32_e64 v3, s0, s3, v1, s0
	v_add_co_u32 v8, s0, s8, v36
	v_add_co_ci_u32_e64 v9, null, s9, 0, s0
	s_clause 0x1
	global_load_dword v10, v[0:1], off
	global_load_dword v11, v[2:3], off
	v_add_co_u32 v0, s0, v2, s2
	v_add_co_ci_u32_e64 v1, s0, s3, v3, s0
	s_clause 0x6
	global_load_dword v12, v36, s[8:9]
	global_load_dword v13, v36, s[8:9] offset:264
	global_load_dword v14, v36, s[8:9] offset:528
	;; [unrolled: 1-line block ×6, first 2 shown]
	global_load_dword v20, v[0:1], off
	v_add_co_u32 v0, s0, v0, s2
	v_add_co_ci_u32_e64 v1, s0, s3, v1, s0
	global_load_dword v21, v36, s[8:9] offset:1848
	v_add_co_u32 v2, s0, v0, s2
	v_add_co_ci_u32_e64 v3, s0, s3, v1, s0
	s_clause 0x1
	global_load_dword v22, v[0:1], off
	global_load_dword v24, v[2:3], off
	v_add_co_u32 v0, s0, v2, s2
	v_add_co_ci_u32_e64 v1, s0, s3, v3, s0
	v_add_co_u32 v2, s0, v0, s2
	v_add_co_ci_u32_e64 v3, s0, s3, v1, s0
	;; [unrolled: 2-line block ×3, first 2 shown]
	global_load_dword v25, v[0:1], off
	global_load_dword v26, v[2:3], off
	v_add_co_u32 v0, s0, v2, s2
	v_add_co_ci_u32_e64 v1, s0, s3, v3, s0
	s_clause 0x2
	global_load_dword v27, v[4:5], off offset:64
	global_load_dword v28, v[4:5], off offset:328
	;; [unrolled: 1-line block ×3, first 2 shown]
	v_add_co_u32 v2, s0, v0, s2
	v_add_co_ci_u32_e64 v3, s0, s3, v1, s0
	global_load_dword v30, v[0:1], off
	v_add_co_u32 v0, s0, v2, s2
	v_add_co_ci_u32_e64 v1, s0, s3, v3, s0
	global_load_dword v31, v[2:3], off
	v_add_co_u32 v2, s0, v0, s2
	v_add_co_ci_u32_e64 v3, s0, s3, v1, s0
	global_load_dword v32, v[0:1], off
	v_add_co_u32 v0, s0, v2, s2
	v_add_co_ci_u32_e64 v1, s0, s3, v3, s0
	global_load_dword v33, v[2:3], off
	v_add_co_u32 v2, s0, v0, s2
	v_add_co_ci_u32_e64 v3, s0, s3, v1, s0
	global_load_dword v34, v[0:1], off
	v_add_co_u32 v0, s0, v2, s2
	v_add_co_ci_u32_e64 v1, s0, s3, v3, s0
	s_clause 0x1
	global_load_dword v35, v[4:5], off offset:856
	global_load_dword v38, v[4:5], off offset:1120
	v_add_co_u32 v6, s0, v0, s2
	v_add_co_ci_u32_e64 v7, s0, s3, v1, s0
	global_load_dword v40, v[2:3], off
	v_add_co_u32 v2, s0, v6, s2
	v_add_co_ci_u32_e64 v3, s0, s3, v7, s0
	global_load_dword v41, v[0:1], off
	s_clause 0x1
	global_load_dword v42, v[4:5], off offset:1384
	global_load_dword v43, v[4:5], off offset:1648
	global_load_dword v6, v[6:7], off
	global_load_dword v7, v[2:3], off
	v_add_co_u32 v0, s0, v2, s2
	v_add_co_ci_u32_e64 v1, s0, s3, v3, s0
	v_add_co_u32 v2, s0, 0x1000, v8
	v_add_co_ci_u32_e64 v3, s0, 0, v9, s0
	global_load_dword v0, v[0:1], off
	s_clause 0x1
	global_load_dword v1, v[4:5], off offset:1912
	global_load_dword v2, v[2:3], off offset:128
	v_lshl_add_u32 v4, v37, 2, v39
	v_add_nc_u32_e32 v3, v39, v36
	v_add_nc_u32_e32 v5, 0x200, v3
	;; [unrolled: 1-line block ×7, first 2 shown]
	s_waitcnt vmcnt(33)
	v_lshrrev_b32_e32 v9, 16, v10
	s_waitcnt vmcnt(31)
	v_mul_f16_sdwa v46, v12, v10 dst_sel:DWORD dst_unused:UNUSED_PAD src0_sel:WORD_1 src1_sel:DWORD
	v_lshrrev_b32_e32 v49, 16, v11
	v_mul_f16_sdwa v48, v12, v9 dst_sel:DWORD dst_unused:UNUSED_PAD src0_sel:WORD_1 src1_sel:DWORD
	v_fma_f16 v9, v12, v9, -v46
	s_waitcnt vmcnt(30)
	v_mul_f16_sdwa v46, v13, v11 dst_sel:DWORD dst_unused:UNUSED_PAD src0_sel:WORD_1 src1_sel:DWORD
	s_waitcnt vmcnt(24)
	v_mul_f16_sdwa v51, v14, v20 dst_sel:DWORD dst_unused:UNUSED_PAD src0_sel:WORD_1 src1_sel:DWORD
	v_fmac_f16_e32 v48, v12, v10
	v_mul_f16_sdwa v10, v13, v49 dst_sel:DWORD dst_unused:UNUSED_PAD src0_sel:WORD_1 src1_sel:DWORD
	v_lshrrev_b32_e32 v12, 16, v20
	v_fma_f16 v46, v13, v49, -v46
	v_pack_b32_f16 v9, v48, v9
	v_fmac_f16_e32 v10, v13, v11
	v_mul_f16_sdwa v11, v14, v12 dst_sel:DWORD dst_unused:UNUSED_PAD src0_sel:WORD_1 src1_sel:DWORD
	s_waitcnt vmcnt(22)
	v_lshrrev_b32_e32 v13, 16, v22
	v_fma_f16 v12, v14, v12, -v51
	v_mul_f16_sdwa v48, v15, v22 dst_sel:DWORD dst_unused:UNUSED_PAD src0_sel:WORD_1 src1_sel:DWORD
	ds_write_b32 v4, v9
	v_pack_b32_f16 v4, v10, v46
	v_fmac_f16_e32 v11, v14, v20
	v_mul_f16_sdwa v9, v15, v13 dst_sel:DWORD dst_unused:UNUSED_PAD src0_sel:WORD_1 src1_sel:DWORD
	s_waitcnt vmcnt(21)
	v_lshrrev_b32_e32 v10, 16, v24
	v_mul_f16_sdwa v14, v17, v24 dst_sel:DWORD dst_unused:UNUSED_PAD src0_sel:WORD_1 src1_sel:DWORD
	v_fma_f16 v13, v15, v13, -v48
	v_pack_b32_f16 v11, v11, v12
	v_fmac_f16_e32 v9, v15, v22
	v_mul_f16_sdwa v12, v17, v10 dst_sel:DWORD dst_unused:UNUSED_PAD src0_sel:WORD_1 src1_sel:DWORD
	v_fma_f16 v10, v17, v10, -v14
	s_waitcnt vmcnt(20)
	v_lshrrev_b32_e32 v14, 16, v25
	v_mul_f16_sdwa v15, v18, v25 dst_sel:DWORD dst_unused:UNUSED_PAD src0_sel:WORD_1 src1_sel:DWORD
	ds_write2_b32 v3, v4, v11 offset0:66 offset1:132
	v_pack_b32_f16 v4, v9, v13
	v_fmac_f16_e32 v12, v17, v24
	v_mul_f16_sdwa v9, v18, v14 dst_sel:DWORD dst_unused:UNUSED_PAD src0_sel:WORD_1 src1_sel:DWORD
	s_waitcnt vmcnt(19)
	v_lshrrev_b32_e32 v11, 16, v26
	v_mul_f16_sdwa v13, v19, v26 dst_sel:DWORD dst_unused:UNUSED_PAD src0_sel:WORD_1 src1_sel:DWORD
	v_fma_f16 v14, v18, v14, -v15
	v_pack_b32_f16 v10, v12, v10
	v_fmac_f16_e32 v9, v18, v25
	v_mul_f16_sdwa v12, v19, v11 dst_sel:DWORD dst_unused:UNUSED_PAD src0_sel:WORD_1 src1_sel:DWORD
	v_fma_f16 v11, v19, v11, -v13
	s_waitcnt vmcnt(15)
	v_lshrrev_b32_e32 v13, 16, v30
	v_mul_f16_sdwa v15, v21, v30 dst_sel:DWORD dst_unused:UNUSED_PAD src0_sel:WORD_1 src1_sel:DWORD
	ds_write2_b32 v5, v4, v10 offset0:70 offset1:136
	;; [unrolled: 15-line block ×3, first 2 shown]
	v_pack_b32_f16 v4, v5, v13
	v_fmac_f16_e32 v12, v27, v31
	v_mul_f16_sdwa v5, v28, v10 dst_sel:DWORD dst_unused:UNUSED_PAD src0_sel:WORD_1 src1_sel:DWORD
	s_waitcnt vmcnt(12)
	v_lshrrev_b32_e32 v8, 16, v33
	v_fma_f16 v10, v28, v10, -v14
	v_mul_f16_sdwa v11, v29, v33 dst_sel:DWORD dst_unused:UNUSED_PAD src0_sel:WORD_1 src1_sel:DWORD
	v_pack_b32_f16 v9, v12, v9
	v_fmac_f16_e32 v5, v28, v32
	v_mul_f16_sdwa v12, v29, v8 dst_sel:DWORD dst_unused:UNUSED_PAD src0_sel:WORD_1 src1_sel:DWORD
	s_waitcnt vmcnt(11)
	v_lshrrev_b32_e32 v13, 16, v34
	s_waitcnt vmcnt(10)
	v_mul_f16_sdwa v14, v35, v34 dst_sel:DWORD dst_unused:UNUSED_PAD src0_sel:WORD_1 src1_sel:DWORD
	v_fma_f16 v8, v29, v8, -v11
	v_pack_b32_f16 v5, v5, v10
	v_fmac_f16_e32 v12, v29, v33
	v_mul_f16_sdwa v10, v35, v13 dst_sel:DWORD dst_unused:UNUSED_PAD src0_sel:WORD_1 src1_sel:DWORD
	v_fma_f16 v11, v35, v13, -v14
	s_waitcnt vmcnt(8)
	v_lshrrev_b32_e32 v13, 16, v40
	v_mul_f16_sdwa v14, v38, v40 dst_sel:DWORD dst_unused:UNUSED_PAD src0_sel:WORD_1 src1_sel:DWORD
	v_pack_b32_f16 v8, v12, v8
	v_fmac_f16_e32 v10, v35, v34
	s_waitcnt vmcnt(7)
	v_lshrrev_b32_e32 v12, 16, v41
	v_mul_f16_sdwa v15, v38, v13 dst_sel:DWORD dst_unused:UNUSED_PAD src0_sel:WORD_1 src1_sel:DWORD
	v_fma_f16 v13, v38, v13, -v14
	s_waitcnt vmcnt(6)
	v_mul_f16_sdwa v14, v42, v41 dst_sel:DWORD dst_unused:UNUSED_PAD src0_sel:WORD_1 src1_sel:DWORD
	s_waitcnt vmcnt(4)
	v_lshrrev_b32_e32 v17, 16, v6
	v_pack_b32_f16 v10, v10, v11
	v_mul_f16_sdwa v11, v42, v12 dst_sel:DWORD dst_unused:UNUSED_PAD src0_sel:WORD_1 src1_sel:DWORD
	s_waitcnt vmcnt(3)
	v_lshrrev_b32_e32 v18, 16, v7
	v_fma_f16 v12, v42, v12, -v14
	v_mul_f16_sdwa v14, v43, v6 dst_sel:DWORD dst_unused:UNUSED_PAD src0_sel:WORD_1 src1_sel:DWORD
	s_waitcnt vmcnt(2)
	v_lshrrev_b32_e32 v20, 16, v0
	v_mul_f16_sdwa v19, v43, v17 dst_sel:DWORD dst_unused:UNUSED_PAD src0_sel:WORD_1 src1_sel:DWORD
	s_waitcnt vmcnt(1)
	v_mul_f16_sdwa v21, v1, v18 dst_sel:DWORD dst_unused:UNUSED_PAD src0_sel:WORD_1 src1_sel:DWORD
	s_waitcnt vmcnt(0)
	v_mul_f16_sdwa v22, v2, v0 dst_sel:DWORD dst_unused:UNUSED_PAD src0_sel:WORD_1 src1_sel:DWORD
	v_fma_f16 v14, v43, v17, -v14
	v_mul_f16_sdwa v17, v1, v7 dst_sel:DWORD dst_unused:UNUSED_PAD src0_sel:WORD_1 src1_sel:DWORD
	v_mul_f16_sdwa v24, v2, v20 dst_sel:DWORD dst_unused:UNUSED_PAD src0_sel:WORD_1 src1_sel:DWORD
	v_fmac_f16_e32 v15, v38, v40
	v_fmac_f16_e32 v11, v42, v41
	;; [unrolled: 1-line block ×3, first 2 shown]
	v_fma_f16 v6, v1, v18, -v17
	v_fmac_f16_e32 v21, v1, v7
	v_fma_f16 v1, v2, v20, -v22
	v_fmac_f16_e32 v24, v2, v0
	v_pack_b32_f16 v0, v15, v13
	v_pack_b32_f16 v2, v11, v12
	;; [unrolled: 1-line block ×5, first 2 shown]
	v_add_nc_u32_e32 v3, 0xe00, v3
	ds_write2_b32 v44, v4, v9 offset0:78 offset1:144
	ds_write2_b32 v45, v5, v8 offset0:82 offset1:148
	;; [unrolled: 1-line block ×5, first 2 shown]
.LBB0_3:
	s_or_b32 exec_lo, exec_lo, s1
	s_clause 0x1
	s_load_dwordx2 s[0:1], s[4:5], 0x20
	s_load_dwordx2 s[2:3], s[4:5], 0x8
	v_mov_b32_e32 v8, 0
	s_waitcnt lgkmcnt(0)
	s_barrier
	buffer_gl0_inv
                                        ; implicit-def: $vgpr21
                                        ; implicit-def: $vgpr1
                                        ; implicit-def: $vgpr3
                                        ; implicit-def: $vgpr5
                                        ; implicit-def: $vgpr7
                                        ; implicit-def: $vgpr11
                                        ; implicit-def: $vgpr13
                                        ; implicit-def: $vgpr15
                                        ; implicit-def: $vgpr52
	s_and_saveexec_b32 s4, vcc_lo
	s_cbranch_execz .LBB0_5
; %bb.4:
	v_lshl_add_u32 v17, v23, 2, v36
	v_add_nc_u32_e32 v0, 0x400, v17
	v_add_nc_u32_e32 v1, 0x800, v17
	v_add_nc_u32_e32 v18, 0xc00, v17
	ds_read2_b32 v[8:9], v17 offset1:66
	ds_read2_b32 v[14:15], v17 offset0:132 offset1:198
	ds_read2_b32 v[12:13], v0 offset0:8 offset1:74
	;; [unrolled: 1-line block ×7, first 2 shown]
	ds_read_b32 v21, v17 offset:4224
	s_waitcnt lgkmcnt(7)
	v_alignbit_b32 v52, v14, v14, 16
.LBB0_5:
	s_or_b32 exec_lo, exec_lo, s4
	s_waitcnt lgkmcnt(0)
	v_pk_add_f16 v25, v9, v21 neg_lo:[0,1] neg_hi:[0,1]
	v_mov_b32_e32 v20, 0xbbf7
	v_mov_b32_e32 v24, 0xbbb2
	v_pk_add_f16 v14, v21, v9
	v_pk_add_f16 v22, v1, v52 op_sel:[1,0] op_sel_hi:[0,1]
	v_pk_add_f16 v26, v52, v1 op_sel:[1,0] op_sel_hi:[0,1] neg_lo:[0,1] neg_hi:[0,1]
	v_mul_f16_sdwa v50, v25, v20 dst_sel:DWORD dst_unused:UNUSED_PAD src0_sel:WORD_1 src1_sel:DWORD
	v_mov_b32_e32 v19, 0xb1e1
	v_mul_f16_sdwa v54, v25, v24 dst_sel:DWORD dst_unused:UNUSED_PAD src0_sel:WORD_1 src1_sel:DWORD
	v_lshrrev_b32_e32 v58, 16, v22
	v_mov_b32_e32 v27, 0x3836
	v_fmamk_f16 v17, v14, 0x2de8, v50
	v_mul_f16_sdwa v51, v26, v19 dst_sel:DWORD dst_unused:UNUSED_PAD src0_sel:WORD_1 src1_sel:DWORD
	v_fmamk_f16 v18, v14, 0xb461, v54
	v_mov_b32_e32 v40, 0x3bb2
	v_mul_f16_sdwa v56, v26, v27 dst_sel:DWORD dst_unused:UNUSED_PAD src0_sel:WORD_1 src1_sel:DWORD
	v_add_f16_e32 v17, v17, v8
	v_fmamk_f16 v28, v58, 0xbbdd, v51
	v_pk_add_f16 v29, v15, v0 neg_lo:[0,1] neg_hi:[0,1]
	v_mov_b32_e32 v42, 0x3964
	v_mov_b32_e32 v35, 0xbb29
	v_add_f16_e32 v18, v18, v8
	v_add_f16_e32 v17, v28, v17
	v_fmamk_f16 v28, v58, 0xbacd, v56
	v_pk_add_f16 v27, v0, v15
	v_mul_f16_sdwa v53, v29, v40 dst_sel:DWORD dst_unused:UNUSED_PAD src0_sel:WORD_1 src1_sel:DWORD
	v_mul_f16_sdwa v59, v29, v42 dst_sel:DWORD dst_unused:UNUSED_PAD src0_sel:WORD_1 src1_sel:DWORD
	v_pk_add_f16 v31, v12, v3 neg_lo:[0,1] neg_hi:[0,1]
	v_mov_b32_e32 v30, 0x35c8
	v_add_f16_e32 v18, v28, v18
	v_fmamk_f16 v32, v27, 0xb461, v53
	v_fmamk_f16 v34, v27, 0x39e9, v59
	v_pk_add_f16 v28, v3, v12
	v_mul_f16_sdwa v55, v31, v30 dst_sel:DWORD dst_unused:UNUSED_PAD src0_sel:WORD_1 src1_sel:DWORD
	v_mul_f16_sdwa v62, v31, v35 dst_sel:DWORD dst_unused:UNUSED_PAD src0_sel:WORD_1 src1_sel:DWORD
	v_pk_add_f16 v33, v13, v2 neg_lo:[0,1] neg_hi:[0,1]
	v_add_f16_e32 v17, v32, v17
	v_add_f16_e32 v18, v34, v18
	v_fmamk_f16 v32, v28, 0x3b76, v55
	v_fmamk_f16 v34, v28, 0x3722, v62
	v_pk_add_f16 v30, v2, v13
	v_mul_f16_sdwa v57, v33, v35 dst_sel:DWORD dst_unused:UNUSED_PAD src0_sel:WORD_1 src1_sel:DWORD
	v_mul_f16_sdwa v65, v33, v19 dst_sel:DWORD dst_unused:UNUSED_PAD src0_sel:WORD_1 src1_sel:DWORD
	v_add_f16_e32 v17, v32, v17
	v_add_f16_e32 v18, v34, v18
	v_mov_b32_e32 v43, 0xb836
	v_fmamk_f16 v32, v30, 0x3722, v57
	v_pk_add_f16 v34, v10, v5 neg_lo:[0,1] neg_hi:[0,1]
	v_mov_b32_e32 v44, 0x3bf7
	v_fmamk_f16 v41, v30, 0xbbdd, v65
	v_pk_add_f16 v38, v11, v4 neg_lo:[0,1] neg_hi:[0,1]
	v_add_f16_e32 v17, v32, v17
	v_pk_add_f16 v32, v5, v10
	v_mul_f16_sdwa v60, v34, v43 dst_sel:DWORD dst_unused:UNUSED_PAD src0_sel:WORD_1 src1_sel:DWORD
	v_mul_f16_sdwa v67, v34, v44 dst_sel:DWORD dst_unused:UNUSED_PAD src0_sel:WORD_1 src1_sel:DWORD
	v_mov_b32_e32 v45, 0x3a62
	v_mov_b32_e32 v46, 0xb5c8
	v_add_f16_e32 v18, v41, v18
	v_fmamk_f16 v47, v32, 0xbacd, v60
	v_fmamk_f16 v49, v32, 0x2de8, v67
	v_pk_add_f16 v41, v4, v11
	v_mul_f16_sdwa v64, v38, v45 dst_sel:DWORD dst_unused:UNUSED_PAD src0_sel:WORD_1 src1_sel:DWORD
	v_mul_f16_sdwa v71, v38, v46 dst_sel:DWORD dst_unused:UNUSED_PAD src0_sel:WORD_1 src1_sel:DWORD
	v_pk_add_f16 v48, v6, v7 neg_lo:[0,1] neg_hi:[0,1]
	v_add_f16_e32 v17, v47, v17
	v_add_f16_e32 v18, v49, v18
	v_fmamk_f16 v45, v41, 0xb8d2, v64
	v_fmamk_f16 v47, v41, 0x3b76, v71
	v_pk_add_f16 v49, v7, v6
	v_mul_f16_sdwa v66, v48, v42 dst_sel:DWORD dst_unused:UNUSED_PAD src0_sel:WORD_1 src1_sel:DWORD
	v_mul_f16_sdwa v61, v25, v46 dst_sel:DWORD dst_unused:UNUSED_PAD src0_sel:WORD_1 src1_sel:DWORD
	v_add_f16_e32 v17, v45, v17
	v_add_f16_e32 v45, v47, v18
	v_mov_b32_e32 v47, 0xba62
	v_fmamk_f16 v18, v49, 0x39e9, v66
	v_mov_b32_e32 v85, 0xb964
	v_lshrrev_b32_e32 v107, 16, v14
	v_mul_f16_e32 v68, 0xb964, v25
	v_mul_f16_sdwa v75, v48, v47 dst_sel:DWORD dst_unused:UNUSED_PAD src0_sel:WORD_1 src1_sel:DWORD
	v_add_f16_e32 v18, v18, v17
	v_fmamk_f16 v17, v14, 0x3b76, v61
	v_mul_f16_sdwa v63, v26, v85 dst_sel:DWORD dst_unused:UNUSED_PAD src0_sel:WORD_1 src1_sel:DWORD
	v_fma_f16 v70, v107, 0x39e9, -v68
	v_mul_f16_e32 v69, 0xbbf7, v26
	v_fmamk_f16 v73, v49, 0xb8d2, v75
	v_add_f16_e32 v74, v17, v8
	v_fmamk_f16 v76, v58, 0x39e9, v63
	v_add_f16_sdwa v70, v70, v8 dst_sel:DWORD dst_unused:UNUSED_PAD src0_sel:DWORD src1_sel:WORD_1
	v_mul_f16_sdwa v72, v25, v35 dst_sel:DWORD dst_unused:UNUSED_PAD src0_sel:WORD_1 src1_sel:DWORD
	v_fma_f16 v77, v22, 0x2de8, -v69
	v_mul_f16_e32 v78, 0xbb29, v25
	v_add_f16_e32 v17, v73, v45
	v_add_f16_e32 v45, v76, v74
	v_fmamk_f16 v73, v14, 0x3722, v72
	v_add_f16_e32 v76, v77, v70
	v_mul_f16_sdwa v74, v26, v47 dst_sel:DWORD dst_unused:UNUSED_PAD src0_sel:WORD_1 src1_sel:DWORD
	v_fma_f16 v70, v107, 0x3722, -v78
	v_mul_f16_e32 v79, 0xba62, v26
	v_mul_f16_e32 v89, 0xbbf7, v25
	v_add_f16_e32 v73, v73, v8
	v_fmamk_f16 v77, v58, 0xb8d2, v74
	v_add_f16_sdwa v70, v70, v8 dst_sel:DWORD dst_unused:UNUSED_PAD src0_sel:DWORD src1_sel:WORD_1
	v_fma_f16 v80, v22, 0xb8d2, -v79
	v_fma_f16 v81, v107, 0x2de8, -v89
	v_mul_f16_e32 v91, 0xb1e1, v26
	v_mul_f16_e32 v111, 0xbbb2, v25
	v_add_f16_e32 v73, v77, v73
	v_add_f16_e32 v82, v80, v70
	v_add_f16_sdwa v77, v81, v8 dst_sel:DWORD dst_unused:UNUSED_PAD src0_sel:DWORD src1_sel:WORD_1
	v_fma_f16 v80, v22, 0xbbdd, -v91
	v_mul_f16_e32 v139, 0xba62, v25
	v_fma_f16 v70, v107, 0xb461, -v111
	v_mul_f16_e32 v112, 0x3836, v26
	v_mul_f16_sdwa v129, v25, v47 dst_sel:DWORD dst_unused:UNUSED_PAD src0_sel:WORD_1 src1_sel:DWORD
	v_add_f16_e32 v83, v80, v77
	v_fma_f16 v80, v107, 0xb8d2, -v139
	v_add_f16_sdwa v70, v70, v8 dst_sel:DWORD dst_unused:UNUSED_PAD src0_sel:DWORD src1_sel:WORD_1
	v_fma_f16 v81, v22, 0xbacd, -v112
	v_fmamk_f16 v77, v14, 0xb8d2, v129
	v_mul_f16_sdwa v130, v26, v40 dst_sel:DWORD dst_unused:UNUSED_PAD src0_sel:WORD_1 src1_sel:DWORD
	v_mul_f16_e32 v136, 0x3bb2, v26
	v_add_f16_sdwa v87, v80, v8 dst_sel:DWORD dst_unused:UNUSED_PAD src0_sel:DWORD src1_sel:WORD_1
	v_mov_b32_e32 v80, 0x31e1
	v_add_f16_e32 v81, v81, v70
	v_add_f16_e32 v84, v77, v8
	v_fmamk_f16 v86, v58, 0xb461, v130
	v_fma_f16 v88, v22, 0xb461, -v136
	v_mul_f16_sdwa v70, v29, v35 dst_sel:DWORD dst_unused:UNUSED_PAD src0_sel:WORD_1 src1_sel:DWORD
	v_mul_f16_sdwa v80, v29, v80 dst_sel:DWORD dst_unused:UNUSED_PAD src0_sel:WORD_1 src1_sel:DWORD
	v_lshrrev_b32_e32 v117, 16, v27
	v_mul_f16_e32 v77, 0xba62, v29
	v_add_f16_e32 v35, v86, v84
	v_add_f16_e32 v84, v88, v87
	v_fmamk_f16 v87, v27, 0x3722, v70
	v_fmamk_f16 v90, v27, 0xbbdd, v80
	v_mul_f16_e32 v86, 0x31e1, v29
	v_fma_f16 v88, v117, 0xb8d2, -v77
	v_mul_f16_e32 v103, 0x3bb2, v29
	v_add_f16_e32 v45, v87, v45
	v_add_f16_e32 v87, v90, v73
	v_fma_f16 v73, v117, 0xbbdd, -v86
	v_mul_f16_e32 v128, 0x3964, v29
	v_mul_f16_sdwa v135, v29, v46 dst_sel:DWORD dst_unused:UNUSED_PAD src0_sel:WORD_1 src1_sel:DWORD
	v_add_f16_e32 v76, v88, v76
	v_fma_f16 v88, v117, 0xb461, -v103
	v_mul_f16_e32 v142, 0xb5c8, v29
	v_add_f16_e32 v82, v73, v82
	v_fma_f16 v90, v117, 0x39e9, -v128
	v_fmamk_f16 v92, v27, 0x3b76, v135
	v_mul_f16_sdwa v73, v31, v20 dst_sel:DWORD dst_unused:UNUSED_PAD src0_sel:WORD_1 src1_sel:DWORD
	v_add_f16_e32 v88, v88, v83
	v_fma_f16 v93, v117, 0x3b76, -v142
	v_lshrrev_b32_e32 v123, 16, v28
	v_mul_f16_e32 v83, 0xb1e1, v31
	v_add_f16_e32 v81, v90, v81
	v_add_f16_e32 v35, v92, v35
	v_fmamk_f16 v90, v28, 0x2de8, v73
	v_mul_f16_e32 v92, 0x3bb2, v31
	v_add_f16_e32 v93, v93, v84
	v_fma_f16 v94, v123, 0xbbdd, -v83
	v_mul_f16_sdwa v84, v31, v40 dst_sel:DWORD dst_unused:UNUSED_PAD src0_sel:WORD_1 src1_sel:DWORD
	v_add_f16_e32 v40, v90, v45
	v_fma_f16 v90, v123, 0xb461, -v92
	v_mul_f16_e32 v134, 0xbb29, v31
	v_mul_f16_e32 v106, 0x35c8, v31
	v_add_f16_e32 v45, v94, v76
	v_fmamk_f16 v76, v28, 0xb461, v84
	v_add_f16_e32 v95, v90, v82
	v_fma_f16 v90, v123, 0x3722, -v134
	v_mul_f16_e32 v145, 0xb836, v31
	v_fma_f16 v94, v123, 0x3b76, -v106
	v_mul_f16_sdwa v141, v31, v43 dst_sel:DWORD dst_unused:UNUSED_PAD src0_sel:WORD_1 src1_sel:DWORD
	v_add_f16_e32 v87, v76, v87
	v_mul_f16_sdwa v76, v33, v24 dst_sel:DWORD dst_unused:UNUSED_PAD src0_sel:WORD_1 src1_sel:DWORD
	v_add_f16_e32 v24, v90, v81
	v_fma_f16 v81, v123, 0xbacd, -v145
	v_mul_f16_sdwa v90, v33, v42 dst_sel:DWORD dst_unused:UNUSED_PAD src0_sel:WORD_1 src1_sel:DWORD
	v_add_f16_e32 v88, v94, v88
	v_fmamk_f16 v94, v28, 0xbacd, v141
	v_lshrrev_b32_e32 v127, 16, v30
	v_add_f16_e32 v42, v81, v93
	v_fmamk_f16 v81, v30, 0x39e9, v90
	v_mul_f16_e32 v113, 0xbb29, v33
	v_mul_f16_e32 v82, 0x3836, v33
	v_add_f16_e32 v35, v94, v35
	v_fmamk_f16 v94, v30, 0xb461, v76
	v_mul_f16_e32 v97, 0x3964, v33
	v_mul_f16_e32 v137, 0xb1e1, v33
	v_mul_f16_sdwa v143, v33, v44 dst_sel:DWORD dst_unused:UNUSED_PAD src0_sel:WORD_1 src1_sel:DWORD
	v_add_f16_e32 v44, v81, v87
	v_fma_f16 v87, v127, 0x3722, -v113
	v_fma_f16 v96, v127, 0xbacd, -v82
	v_add_f16_e32 v40, v94, v40
	v_fma_f16 v93, v127, 0x39e9, -v97
	v_fma_f16 v94, v127, 0xbbdd, -v137
	v_mul_f16_e32 v149, 0x3bf7, v33
	v_mul_f16_sdwa v81, v34, v47 dst_sel:DWORD dst_unused:UNUSED_PAD src0_sel:WORD_1 src1_sel:DWORD
	v_add_f16_e32 v47, v87, v88
	v_lshrrev_b32_e32 v131, 16, v32
	v_mul_f16_e32 v87, 0x3bb2, v34
	v_add_f16_e32 v45, v96, v45
	v_add_f16_e32 v93, v93, v95
	v_fmamk_f16 v95, v30, 0x2de8, v143
	v_add_f16_e32 v24, v94, v24
	v_fma_f16 v94, v127, 0x2de8, -v149
	v_mul_f16_sdwa v88, v34, v46 dst_sel:DWORD dst_unused:UNUSED_PAD src0_sel:WORD_1 src1_sel:DWORD
	v_fma_f16 v46, v131, 0xb461, -v87
	v_mul_f16_e32 v125, 0xb836, v34
	v_add_f16_e32 v35, v95, v35
	v_fmamk_f16 v95, v32, 0xb8d2, v81
	v_add_f16_e32 v42, v94, v42
	v_mul_f16_e32 v108, 0xb5c8, v34
	v_fmamk_f16 v94, v32, 0x3b76, v88
	v_mul_f16_e32 v140, 0x3bf7, v34
	v_add_f16_e32 v45, v46, v45
	v_fma_f16 v46, v131, 0xbacd, -v125
	v_mul_f16_sdwa v146, v34, v85 dst_sel:DWORD dst_unused:UNUSED_PAD src0_sel:WORD_1 src1_sel:DWORD
	v_add_f16_e32 v40, v95, v40
	v_fma_f16 v95, v131, 0x3b76, -v108
	v_add_f16_e32 v44, v94, v44
	v_fma_f16 v94, v131, 0x2de8, -v140
	v_mul_f16_e32 v150, 0xb964, v34
	v_add_f16_e32 v46, v46, v47
	v_fmamk_f16 v47, v32, 0x39e9, v146
	v_add_f16_e32 v95, v95, v93
	v_add_f16_e32 v24, v94, v24
	v_fma_f16 v96, v131, 0x39e9, -v150
	v_lshrrev_b32_e32 v133, 16, v41
	v_mul_f16_e32 v93, 0x3b29, v38
	v_add_f16_e32 v35, v47, v35
	v_mul_f16_sdwa v94, v38, v20 dst_sel:DWORD dst_unused:UNUSED_PAD src0_sel:WORD_1 src1_sel:DWORD
	v_pk_mul_f16 v47, 0x3b7639e9, v14
	v_add_f16_e32 v20, v96, v42
	v_fma_f16 v42, v133, 0x3722, -v93
	v_mul_f16_e32 v120, 0xbbf7, v38
	v_fmamk_f16 v96, v41, 0x2de8, v94
	v_pk_mul_f16 v105, 0xbbf7b964, v26
	v_pk_fma_f16 v102, 0xb964b5c8, v25, v47 op_sel:[0,0,1] op_sel_hi:[1,1,0]
	v_mul_f16_sdwa v85, v38, v43 dst_sel:DWORD dst_unused:UNUSED_PAD src0_sel:WORD_1 src1_sel:DWORD
	v_add_f16_e32 v45, v42, v45
	v_add_f16_e32 v44, v96, v44
	v_fma_f16 v42, v133, 0x2de8, -v120
	v_mul_f16_e32 v132, 0x3a62, v38
	v_pk_fma_f16 v100, 0x2de839e9, v22, v105
	v_add_f16_sdwa v96, v102, v8 dst_sel:DWORD dst_unused:UNUSED_PAD src0_sel:WORD_1 src1_sel:DWORD
	v_pk_mul_f16 v114, 0x3722b8d2, v27
	v_fmamk_f16 v98, v41, 0xbacd, v85
	v_add_f16_e32 v116, v42, v95
	v_fma_f16 v42, v133, 0xb8d2, -v132
	v_mul_f16_e32 v147, 0xb5c8, v38
	v_add_f16_sdwa v95, v100, v96 dst_sel:DWORD dst_unused:UNUSED_PAD src0_sel:WORD_1 src1_sel:DWORD
	v_pk_fma_f16 v96, 0xba62bb29, v29, v114 op_sel:[0,0,1] op_sel_hi:[1,1,0]
	v_pk_mul_f16 v115, 0x2de8bbdd, v28
	v_add_f16_e32 v40, v98, v40
	v_add_f16_e32 v46, v42, v46
	v_fma_f16 v42, v133, 0x3b76, -v147
	v_mul_f16_sdwa v151, v38, v19 dst_sel:DWORD dst_unused:UNUSED_PAD src0_sel:WORD_1 src1_sel:DWORD
	v_add_f16_sdwa v95, v96, v95 dst_sel:DWORD dst_unused:UNUSED_PAD src0_sel:WORD_1 src1_sel:DWORD
	v_pk_fma_f16 v98, 0xb1e1bbf7, v31, v115 op_sel:[0,0,1] op_sel_hi:[1,1,0]
	v_pk_mul_f16 v121, 0xb461bacd, v30
	v_add_f16_e32 v24, v42, v24
	v_fmamk_f16 v42, v41, 0xbbdd, v151
	v_mul_f16_e32 v153, 0xb1e1, v38
	v_add_f16_sdwa v101, v98, v95 dst_sel:DWORD dst_unused:UNUSED_PAD src0_sel:WORD_1 src1_sel:DWORD
	v_pk_fma_f16 v99, 0x3836bbb2, v33, v121 op_sel:[0,0,1] op_sel_hi:[1,1,0]
	v_pk_mul_f16 v122, 0xb8d2b461, v32
	v_add_f16_e32 v156, v42, v35
	v_mul_f16_sdwa v95, v48, v19 dst_sel:DWORD dst_unused:UNUSED_PAD src0_sel:WORD_1 src1_sel:DWORD
	v_fma_f16 v19, v133, 0xbbdd, -v153
	v_add_f16_sdwa v35, v99, v101 dst_sel:DWORD dst_unused:UNUSED_PAD src0_sel:WORD_1 src1_sel:DWORD
	v_pk_fma_f16 v101, 0x3bb2ba62, v34, v122 op_sel:[0,0,1] op_sel_hi:[1,1,0]
	v_pk_mul_f16 v154, 0xbacd3722, v41
	v_pk_fma_f16 v124, 0xb964b5c8, v25, v47 op_sel:[0,0,1] op_sel_hi:[1,1,0] neg_lo:[0,1,0] neg_hi:[0,1,0]
	v_fmamk_f16 v42, v49, 0xbbdd, v95
	v_add_f16_e32 v157, v19, v20
	v_mul_f16_sdwa v110, v48, v43 dst_sel:DWORD dst_unused:UNUSED_PAD src0_sel:WORD_1 src1_sel:DWORD
	v_add_f16_sdwa v19, v101, v35 dst_sel:DWORD dst_unused:UNUSED_PAD src0_sel:WORD_1 src1_sel:DWORD
	v_pk_fma_f16 v104, 0x3b29b836, v38, v154 op_sel:[0,0,1] op_sel_hi:[1,1,0]
	v_pk_mul_f16 v35, 0xbbdd3b76, v49
	v_pk_fma_f16 v119, 0x2de839e9, v22, v105 neg_lo:[0,0,1] neg_hi:[0,0,1]
	v_add_f16_sdwa v43, v124, v8 dst_sel:DWORD dst_unused:UNUSED_PAD src0_sel:DWORD src1_sel:WORD_1
	v_add_f16_e32 v42, v42, v40
	v_fmamk_f16 v20, v49, 0xbacd, v110
	v_add_f16_sdwa v40, v104, v19 dst_sel:DWORD dst_unused:UNUSED_PAD src0_sel:WORD_1 src1_sel:DWORD
	v_pk_fma_f16 v109, 0x35c8b1e1, v48, v35 op_sel:[0,0,1] op_sel_hi:[1,1,0]
	v_pk_fma_f16 v114, 0xba62bb29, v29, v114 op_sel:[0,0,1] op_sel_hi:[1,1,0] neg_lo:[0,1,0] neg_hi:[0,1,0]
	v_add_f16_e32 v43, v119, v43
	v_add_f16_e32 v19, v20, v44
	v_lshrrev_b32_e32 v148, 16, v49
	v_mul_f16_e32 v138, 0xb836, v48
	v_add_f16_sdwa v20, v109, v40 dst_sel:DWORD dst_unused:UNUSED_PAD src0_sel:WORD_1 src1_sel:DWORD
	v_pk_fma_f16 v118, 0xb1e1bbf7, v31, v115 op_sel:[0,0,1] op_sel_hi:[1,1,0] neg_lo:[0,1,0] neg_hi:[0,1,0]
	v_add_f16_e32 v40, v114, v43
	v_pk_fma_f16 v115, 0x3836bbb2, v33, v121 op_sel:[0,0,1] op_sel_hi:[1,1,0] neg_lo:[0,1,0] neg_hi:[0,1,0]
	v_fma_f16 v44, v148, 0xbacd, -v138
	v_mul_f16_e32 v126, 0x35c8, v48
	v_mov_b32_e32 v47, 0x3b29
	v_add_f16_e32 v40, v118, v40
	v_mul_f16_e32 v144, 0x3964, v48
	v_add_f16_e32 v44, v44, v116
	v_pk_fma_f16 v116, 0x3bb2ba62, v34, v122 op_sel:[0,0,1] op_sel_hi:[1,1,0] neg_lo:[0,1,0] neg_hi:[0,1,0]
	v_fma_f16 v43, v148, 0x3b76, -v126
	v_add_f16_e32 v40, v115, v40
	v_mul_f16_e32 v152, 0xba62, v48
	v_mul_f16_e32 v155, 0x3b29, v48
	v_pk_fma_f16 v121, 0x3b29b836, v38, v154 op_sel:[0,0,1] op_sel_hi:[1,1,0] neg_lo:[0,1,0] neg_hi:[0,1,0]
	v_mul_f16_sdwa v154, v48, v47 dst_sel:DWORD dst_unused:UNUSED_PAD src0_sel:WORD_1 src1_sel:DWORD
	v_add_f16_e32 v40, v116, v40
	v_add_f16_e32 v43, v43, v45
	v_fma_f16 v45, v148, 0x39e9, -v144
	v_fma_f16 v47, v148, 0xb8d2, -v152
	;; [unrolled: 1-line block ×3, first 2 shown]
	v_pk_fma_f16 v122, 0x35c8b1e1, v48, v35 op_sel:[0,0,1] op_sel_hi:[1,1,0] neg_lo:[0,1,0] neg_hi:[0,1,0]
	v_add_f16_e32 v40, v121, v40
	v_fmamk_f16 v158, v49, 0x3722, v154
	v_add_f16_e32 v46, v45, v46
	v_add_f16_e32 v47, v47, v24
	;; [unrolled: 1-line block ×5, first 2 shown]
	v_mul_lo_u16 v40, v37, 17
	s_barrier
	buffer_gl0_inv
	s_and_saveexec_b32 s4, vcc_lo
	s_cbranch_execz .LBB0_7
; %bb.6:
	v_mul_f16_e32 v156, 0xb8d2, v107
	v_mul_f16_e32 v157, 0xb461, v22
	v_mul_f16_e32 v158, 0x3b76, v117
	v_mul_f16_e32 v159, 0xbacd, v123
	v_mul_f16_e32 v162, 0xb8d2, v14
	v_add_f16_e32 v139, v139, v156
	v_add_f16_e32 v136, v136, v157
	;; [unrolled: 1-line block ×3, first 2 shown]
	v_mul_f16_e32 v156, 0x2de8, v127
	v_add_f16_e32 v145, v145, v159
	v_add_f16_sdwa v139, v139, v8 dst_sel:DWORD dst_unused:UNUSED_PAD src0_sel:DWORD src1_sel:WORD_1
	v_sub_f16_e32 v129, v162, v129
	v_mul_f16_e32 v160, 0x39e9, v131
	v_mul_f16_e32 v164, 0x3b76, v27
	v_add_f16_e32 v149, v149, v156
	v_add_f16_e32 v136, v136, v139
	v_mul_f16_e32 v139, 0xb461, v58
	v_add_f16_e32 v129, v129, v8
	v_mul_f16_e32 v157, 0xbbdd, v133
	v_add_f16_e32 v150, v150, v160
	v_add_f16_e32 v136, v142, v136
	v_sub_f16_e32 v130, v139, v130
	v_sub_f16_e32 v135, v164, v135
	v_mul_f16_e32 v163, 0x39e9, v107
	v_mul_f16_e32 v142, 0x3722, v107
	v_add_f16_e32 v136, v145, v136
	v_add_f16_e32 v129, v130, v129
	v_mul_f16_e32 v145, 0x2de8, v107
	v_mul_f16_e32 v107, 0xb461, v107
	;; [unrolled: 1-line block ×3, first 2 shown]
	v_add_f16_e32 v136, v149, v136
	v_add_f16_e32 v149, v153, v157
	;; [unrolled: 1-line block ×3, first 2 shown]
	v_mul_f16_e32 v135, 0x3722, v148
	v_add_f16_e32 v107, v111, v107
	v_add_f16_e32 v130, v150, v136
	v_mul_f16_e32 v136, 0xbacd, v28
	v_mul_f16_e32 v111, 0xbacd, v22
	v_add_f16_e32 v135, v155, v135
	v_add_f16_sdwa v107, v107, v8 dst_sel:DWORD dst_unused:UNUSED_PAD src0_sel:DWORD src1_sel:WORD_1
	v_add_f16_e32 v130, v149, v130
	v_sub_f16_e32 v136, v136, v141
	v_mul_f16_e32 v149, 0x2de8, v30
	v_add_f16_e32 v111, v112, v111
	v_mul_f16_e32 v112, 0x39e9, v117
	v_add_f16_e32 v130, v135, v130
	v_add_f16_e32 v129, v136, v129
	v_sub_f16_e32 v143, v149, v143
	v_mul_f16_e32 v135, 0x39e9, v32
	v_mul_f16_e32 v141, 0x39e9, v58
	;; [unrolled: 1-line block ×3, first 2 shown]
	v_add_f16_e32 v107, v111, v107
	v_add_f16_e32 v129, v143, v129
	v_sub_f16_e32 v135, v135, v146
	v_mul_f16_e32 v143, 0xbbdd, v58
	v_mul_f16_e32 v58, 0xbacd, v58
	v_add_f16_e32 v112, v128, v112
	v_sub_f16_e32 v54, v139, v54
	v_add_f16_e32 v129, v135, v129
	v_mul_f16_e32 v135, 0x3722, v123
	v_mul_f16_e32 v153, 0xbbdd, v127
	v_add_f16_e32 v107, v112, v107
	v_mul_f16_e32 v139, 0x39e9, v27
	v_sub_f16_e32 v56, v58, v56
	v_add_f16_e32 v134, v134, v135
	v_add_f16_e32 v54, v54, v8
	v_mul_f16_e32 v111, 0xbbdd, v41
	v_add_f16_e32 v137, v137, v153
	v_sub_f16_e32 v59, v139, v59
	v_add_f16_e32 v107, v134, v107
	v_add_f16_e32 v54, v56, v54
	v_mul_f16_e32 v139, 0x3722, v28
	v_mul_f16_e32 v146, 0xbbdd, v22
	v_sub_f16_e32 v111, v111, v151
	v_add_f16_e32 v107, v137, v107
	v_mul_f16_e32 v137, 0x2de8, v131
	v_add_f16_e32 v54, v59, v54
	v_sub_f16_e32 v62, v139, v62
	v_add_f16_e32 v89, v89, v145
	v_mul_f16_e32 v159, 0x2de8, v14
	v_mul_f16_e32 v151, 0xb8d2, v117
	v_add_f16_e32 v111, v111, v129
	v_mul_f16_e32 v129, 0xbbdd, v117
	v_mul_f16_e32 v117, 0xb461, v117
	v_add_f16_e32 v137, v140, v137
	v_mul_f16_e32 v59, 0x3b76, v133
	v_add_f16_e32 v54, v62, v54
	v_mul_f16_e32 v62, 0xb8d2, v148
	v_add_f16_e32 v91, v91, v146
	v_add_f16_sdwa v89, v89, v8 dst_sel:DWORD dst_unused:UNUSED_PAD src0_sel:DWORD src1_sel:WORD_1
	v_mul_f16_e32 v58, 0xbbdd, v123
	v_mul_f16_e32 v56, 0xb461, v123
	;; [unrolled: 1-line block ×3, first 2 shown]
	v_add_f16_e32 v107, v137, v107
	v_mul_f16_e32 v137, 0xbbdd, v30
	v_add_f16_e32 v59, v147, v59
	v_add_f16_e32 v62, v152, v62
	v_mul_f16_e32 v152, 0x2de8, v32
	v_add_f16_e32 v89, v91, v89
	v_add_f16_e32 v103, v103, v117
	v_sub_f16_e32 v50, v159, v50
	v_mul_f16_e32 v134, 0xb461, v27
	v_mul_f16_e32 v147, 0xbacd, v127
	v_sub_f16_e32 v65, v137, v65
	v_add_f16_e32 v59, v59, v107
	v_mul_f16_e32 v107, 0x39e9, v127
	v_mul_f16_e32 v127, 0x3722, v127
	v_sub_f16_e32 v67, v152, v67
	v_mul_f16_e32 v152, 0x3b76, v41
	v_add_f16_e32 v89, v103, v89
	v_add_f16_e32 v106, v106, v123
	v_sub_f16_e32 v51, v143, v51
	v_add_f16_e32 v50, v50, v8
	v_mul_f16_e32 v149, 0xb8d2, v22
	v_mul_f16_e32 v140, 0x3b76, v28
	v_add_f16_e32 v54, v65, v54
	v_mul_f16_e32 v146, 0xb461, v131
	v_sub_f16_e32 v71, v152, v71
	v_mul_f16_e32 v152, 0x3b76, v131
	v_mul_f16_e32 v131, 0xbacd, v131
	v_add_f16_e32 v89, v106, v89
	v_add_f16_e32 v113, v113, v127
	;; [unrolled: 1-line block ×3, first 2 shown]
	v_sub_f16_e32 v53, v134, v53
	v_mul_f16_e32 v134, 0xb8d2, v49
	v_add_f16_e32 v78, v78, v142
	v_mul_f16_e32 v65, 0x3722, v30
	v_add_f16_e32 v54, v67, v54
	v_add_f16_e32 v59, v62, v59
	v_mul_f16_e32 v62, 0x3722, v133
	v_mul_f16_e32 v103, 0x2de8, v133
	;; [unrolled: 1-line block ×3, first 2 shown]
	v_add_f16_e32 v89, v113, v89
	v_add_f16_e32 v113, v125, v131
	;; [unrolled: 1-line block ×3, first 2 shown]
	v_sub_f16_e32 v53, v140, v55
	v_sub_f16_e32 v55, v134, v75
	v_add_f16_sdwa v75, v78, v8 dst_sel:DWORD dst_unused:UNUSED_PAD src0_sel:DWORD src1_sel:WORD_1
	v_add_f16_e32 v78, v79, v149
	v_mul_f16_e32 v112, 0x3722, v49
	v_mul_f16_e32 v91, 0xbacd, v32
	v_add_f16_e32 v54, v71, v54
	v_add_f16_e32 v79, v113, v89
	;; [unrolled: 1-line block ×3, first 2 shown]
	v_sub_f16_e32 v53, v65, v57
	v_add_f16_e32 v57, v132, v133
	v_add_f16_e32 v65, v78, v75
	;; [unrolled: 1-line block ×3, first 2 shown]
	v_mul_f16_e32 v158, 0x3722, v14
	v_sub_f16_e32 v112, v112, v154
	v_mul_f16_e32 v154, 0xb8d2, v41
	v_add_f16_e32 v54, v55, v54
	v_add_f16_e32 v50, v53, v50
	v_sub_f16_e32 v53, v91, v60
	v_add_f16_e32 v55, v57, v79
	v_add_f16_e32 v57, v75, v65
	;; [unrolled: 1-line block ×3, first 2 shown]
	v_mul_f16_e32 v150, 0x2de8, v22
	v_add_f16_e32 v50, v53, v50
	v_sub_f16_e32 v53, v154, v64
	v_sub_f16_e32 v64, v158, v72
	v_add_f16_e32 v56, v56, v57
	v_add_f16_e32 v57, v97, v107
	v_mul_f16_e32 v143, 0x3b76, v148
	v_mul_f16_e32 v127, 0xbacd, v148
	;; [unrolled: 1-line block ×4, first 2 shown]
	v_add_f16_e32 v50, v53, v50
	v_add_f16_e32 v53, v64, v8
	;; [unrolled: 1-line block ×5, first 2 shown]
	v_alignbit_b32 v105, v8, v8, 16
	v_add_f16_e32 v60, v144, v148
	v_sub_f16_e32 v51, v51, v66
	v_add_f16_e32 v56, v57, v56
	v_add_f16_sdwa v57, v64, v8 dst_sel:DWORD dst_unused:UNUSED_PAD src0_sel:DWORD src1_sel:WORD_1
	v_add_f16_e32 v64, v69, v150
	v_alignbit_b32 v52, v52, v52, 16
	v_mul_f16_e32 v135, 0xbbdd, v27
	v_add_f16_e32 v55, v60, v55
	v_sub_f16_e32 v60, v136, v74
	v_add_f16_e32 v50, v51, v50
	v_add_f16_e32 v51, v64, v57
	;; [unrolled: 1-line block ×3, first 2 shown]
	v_pk_add_f16 v9, v9, v105 op_sel:[0,1] op_sel_hi:[1,0]
	v_add_f16_e32 v111, v112, v111
	v_mul_f16_e32 v112, 0xb461, v28
	v_add_f16_e32 v53, v60, v53
	v_sub_f16_e32 v60, v135, v80
	v_add_f16_e32 v51, v57, v51
	v_add_f16_e32 v57, v83, v58
	v_pk_add_f16 v9, v52, v9
	v_mul_f16_e32 v137, 0x39e9, v30
	v_add_f16_e32 v53, v60, v53
	v_sub_f16_e32 v60, v112, v84
	v_add_f16_e32 v51, v57, v51
	v_add_f16_e32 v52, v82, v147
	v_pk_add_f16 v9, v15, v9
	v_mul_f16_e32 v161, 0x3b76, v14
	v_mul_f16_e32 v67, 0x3b76, v32
	v_add_f16_e32 v53, v60, v53
	v_sub_f16_e32 v60, v137, v90
	v_add_f16_e32 v15, v52, v51
	v_add_f16_e32 v51, v87, v146
	v_pk_add_f16 v9, v12, v9
	v_mul_f16_e32 v71, 0x2de8, v41
	v_add_f16_e32 v53, v60, v53
	v_sub_f16_e32 v58, v67, v88
	v_sub_f16_e32 v57, v161, v61
	v_add_f16_e32 v15, v51, v15
	v_add_f16_e32 v51, v93, v62
	v_pk_add_f16 v9, v13, v9
	v_mul_f16_e32 v128, 0x3722, v27
	v_add_f16_e32 v53, v58, v53
	v_sub_f16_e32 v58, v71, v94
	v_add_f16_e32 v8, v57, v8
	v_sub_f16_e32 v52, v141, v63
	v_add_f16_e32 v15, v51, v15
	v_bfi_b32 v51, 0xffff, v102, v124
	v_pk_add_f16 v9, v10, v9
	v_mul_f16_e32 v153, 0x2de8, v28
	v_add_f16_e32 v12, v58, v53
	v_add_f16_e32 v8, v52, v8
	v_sub_f16_e32 v13, v128, v70
	v_bfi_b32 v53, 0xffff, v100, v119
	v_pk_add_f16 v9, v11, v9
	v_pk_add_f16 v11, v51, v105
	v_mul_f16_e32 v139, 0xb461, v30
	v_add_f16_e32 v8, v13, v8
	v_sub_f16_e32 v10, v153, v73
	v_bfi_b32 v51, 0xffff, v96, v114
	v_pk_add_f16 v6, v6, v9
	v_pk_add_f16 v9, v53, v11
	v_mul_f16_e32 v145, 0xb8d2, v32
	v_add_f16_e32 v13, v126, v143
	v_add_f16_e32 v8, v10, v8
	v_sub_f16_e32 v10, v139, v76
	v_bfi_b32 v11, 0xffff, v98, v118
	v_pk_add_f16 v6, v7, v6
	v_pk_add_f16 v7, v51, v9
	v_add_f16_e32 v9, v13, v15
	v_add_f16_e32 v8, v10, v8
	v_sub_f16_e32 v10, v145, v81
	v_bfi_b32 v13, 0xffff, v99, v115
	v_pk_add_f16 v4, v4, v6
	v_pk_add_f16 v6, v11, v7
	v_mul_f16_e32 v117, 0xbacd, v41
	v_add_f16_e32 v8, v10, v8
	v_bfi_b32 v10, 0xffff, v101, v116
	v_pk_add_f16 v4, v5, v4
	v_pk_add_f16 v5, v13, v6
	v_mul_f16_e32 v123, 0xbbdd, v49
	v_sub_f16_e32 v7, v117, v85
	v_bfi_b32 v11, 0xffff, v104, v121
	v_pk_add_f16 v2, v2, v4
	v_pk_add_f16 v4, v10, v5
	v_pk_mul_f16 v5, 0xbbdd, v14 op_sel_hi:[0,1]
	v_add_f16_e32 v6, v7, v8
	v_sub_f16_e32 v7, v123, v95
	v_bfi_b32 v8, 0xffff, v109, v122
	v_pk_add_f16 v2, v3, v2
	v_pk_add_f16 v3, v11, v4
	v_pk_fma_f16 v4, 0xb1e1, v25, v5 op_sel:[0,0,1] op_sel_hi:[0,1,0] neg_lo:[0,1,0] neg_hi:[0,1,0]
	v_pk_mul_f16 v10, 0x35c8, v26 op_sel_hi:[0,1]
	v_add_f16_e32 v6, v7, v6
	v_and_b32_e32 v7, 0xffff, v40
	v_pk_add_f16 v0, v0, v2
	v_pk_add_f16 v2, v8, v3
	;; [unrolled: 1-line block ×3, first 2 shown]
	v_pk_fma_f16 v4, 0x3b76, v22, v10 op_sel_hi:[0,1,1] neg_lo:[0,0,1] neg_hi:[0,0,1]
	v_pk_mul_f16 v8, 0xbacd, v27 op_sel_hi:[0,1]
	v_add_lshl_u32 v7, v23, v7, 2
	v_pk_add_f16 v0, v1, v0
	v_alignbit_b32 v1, v9, v2, 16
	v_pack_b32_f16 v2, v6, v2
	v_pk_add_f16 v3, v4, v3
	v_pk_fma_f16 v4, 0xb836, v29, v8 op_sel:[0,0,1] op_sel_hi:[0,1,0] neg_lo:[0,1,0] neg_hi:[0,1,0]
	v_pk_mul_f16 v6, 0x39e9, v28 op_sel_hi:[0,1]
	v_pk_fma_f16 v5, 0xb1e1, v25, v5 op_sel:[0,0,1] op_sel_hi:[0,1,0]
	ds_write2_b32 v7, v2, v1 offset0:1 offset1:2
	v_pk_mul_f16 v11, 0x3722, v32 op_sel_hi:[0,1]
	v_pk_add_f16 v1, v4, v3
	v_pk_fma_f16 v2, 0x3964, v31, v6 op_sel:[0,0,1] op_sel_hi:[0,1,0] neg_lo:[0,1,0] neg_hi:[0,1,0]
	v_pk_mul_f16 v3, 0xb8d2, v30 op_sel_hi:[0,1]
	v_pk_add_f16 v5, v5, v105
	v_pk_fma_f16 v10, 0x3b76, v22, v10 op_sel_hi:[0,1,1]
	v_pk_mul_f16 v13, 0xb461, v41 op_sel_hi:[0,1]
	v_pk_add_f16 v1, v2, v1
	v_pk_fma_f16 v2, 0xba62, v33, v3 op_sel:[0,0,1] op_sel_hi:[0,1,0] neg_lo:[0,1,0] neg_hi:[0,1,0]
	v_pk_mul_f16 v15, 0xb836, v25 op_sel_hi:[0,1]
	v_pk_add_f16 v5, v10, v5
	v_pk_fma_f16 v8, 0xb836, v29, v8 op_sel:[0,0,1] op_sel_hi:[0,1,0]
	v_pk_fma_f16 v6, 0x3964, v31, v6 op_sel:[0,0,1] op_sel_hi:[0,1,0]
	v_pk_add_f16 v1, v2, v1
	v_pk_fma_f16 v2, 0x3b29, v34, v11 op_sel:[0,0,1] op_sel_hi:[0,1,0] neg_lo:[0,1,0] neg_hi:[0,1,0]
	v_pk_fma_f16 v10, 0xbacd, v14, v15 op_sel:[0,0,1] op_sel_hi:[0,1,0]
	v_pk_add_f16 v5, v8, v5
	v_pk_mul_f16 v8, 0x3b29, v26 op_sel_hi:[0,1]
	v_pk_mul_f16 v25, 0xbbf7, v29 op_sel_hi:[0,1]
	v_pk_add_f16 v1, v2, v1
	v_pk_fma_f16 v2, 0xbbb2, v38, v13 op_sel:[0,0,1] op_sel_hi:[0,1,0] neg_lo:[0,1,0] neg_hi:[0,1,0]
	v_pk_add_f16 v5, v6, v5
	v_pk_fma_f16 v3, 0xba62, v33, v3 op_sel:[0,0,1] op_sel_hi:[0,1,0]
	v_pk_fma_f16 v6, 0x3722, v22, v8 op_sel_hi:[0,1,1]
	v_pk_fma_f16 v26, 0x2de8, v27, v25 op_sel:[0,0,1] op_sel_hi:[0,1,0]
	v_pk_add_f16 v1, v2, v1
	v_alignbit_b32 v2, s0, v10, 16
	v_pk_add_f16 v3, v3, v5
	v_pk_fma_f16 v5, 0x3b29, v34, v11 op_sel:[0,0,1] op_sel_hi:[0,1,0]
	v_alignbit_b32 v11, s0, v26, 16
	v_pk_mul_f16 v31, 0x3a62, v31 op_sel_hi:[0,1]
	v_pk_add_f16 v2, v2, v105
	v_pk_fma_f16 v14, 0xbacd, v14, v15 op_sel:[0,0,1] op_sel_hi:[0,1,0] neg_lo:[0,0,1] neg_hi:[0,0,1]
	v_pk_add_f16 v3, v5, v3
	v_pk_fma_f16 v5, 0xbbb2, v38, v13 op_sel:[0,0,1] op_sel_hi:[0,1,0]
	v_pk_mul_f16 v13, 0xb5c8, v33 op_sel_hi:[0,1]
	v_pk_add_f16 v2, v6, v2
	v_alignbit_b32 v15, s0, v105, 16
	v_pk_fma_f16 v8, 0x3722, v22, v8 op_sel_hi:[0,1,1] neg_lo:[0,0,1] neg_hi:[0,0,1]
	v_pk_mul_f16 v34, 0xb1e1, v34 op_sel_hi:[0,1]
	v_pk_fma_f16 v33, 0x3b76, v30, v13 op_sel:[0,0,1] op_sel_hi:[0,1,0]
	v_pk_add_f16 v2, v11, v2
	v_pk_fma_f16 v11, 0xb8d2, v28, v31 op_sel:[0,0,1] op_sel_hi:[0,1,0]
	v_pk_add_f16 v15, v14, v15
	v_alignbit_b32 v51, s0, v8, 16
	v_bfi_b32 v10, 0xffff, v10, v14
	v_pk_fma_f16 v14, 0xbbdd, v32, v34 op_sel:[0,0,1] op_sel_hi:[0,1,0]
	v_alignbit_b32 v22, s0, v11, 16
	v_pk_fma_f16 v25, 0x2de8, v27, v25 op_sel:[0,0,1] op_sel_hi:[0,1,0] neg_lo:[0,0,1] neg_hi:[0,0,1]
	v_pk_add_f16 v15, v51, v15
	v_pk_add_f16 v10, v10, v105 op_sel:[0,1] op_sel_hi:[1,0]
	v_alignbit_b32 v6, v8, v6, 16
	v_pk_add_f16 v2, v22, v2
	v_alignbit_b32 v22, s0, v33, 16
	v_alignbit_b32 v8, s0, v14, 16
	v_pk_add_f16 v15, v25, v15
	v_pk_mul_f16 v27, 0x3964, v38 op_sel_hi:[0,1]
	v_pk_add_f16 v6, v6, v10
	v_pk_add_f16 v2, v22, v2
	v_pk_fma_f16 v22, 0xb8d2, v28, v31 op_sel:[0,0,1] op_sel_hi:[0,1,0] neg_lo:[0,0,1] neg_hi:[0,0,1]
	v_bfi_b32 v10, 0xffff, v26, v25
	v_pk_fma_f16 v13, 0x3b76, v30, v13 op_sel:[0,0,1] op_sel_hi:[0,1,0] neg_lo:[0,0,1] neg_hi:[0,0,1]
	v_mul_f16_e32 v106, 0xbacd, v49
	v_pk_add_f16 v2, v8, v2
	v_pk_add_f16 v8, v22, v15
	v_pk_fma_f16 v15, 0x39e9, v41, v27 op_sel:[0,0,1] op_sel_hi:[0,1,0]
	v_pk_add_f16 v6, v10, v6
	v_bfi_b32 v10, 0xffff, v11, v22
	v_pk_mul_f16 v11, 0xbbb2, v48 op_sel_hi:[0,1]
	v_pk_add_f16 v8, v13, v8
	v_pk_fma_f16 v22, 0xbbdd, v32, v34 op_sel:[0,0,1] op_sel_hi:[0,1,0] neg_lo:[0,0,1] neg_hi:[0,0,1]
	v_add_f16_e32 v65, v120, v103
	v_alignbit_b32 v25, s0, v15, 16
	v_pk_add_f16 v6, v10, v6
	v_bfi_b32 v10, 0xffff, v33, v13
	v_pk_fma_f16 v13, 0xb461, v49, v11 op_sel:[0,0,1] op_sel_hi:[0,1,0]
	v_pk_add_f16 v8, v22, v8
	v_pk_fma_f16 v26, 0x39e9, v41, v27 op_sel:[0,0,1] op_sel_hi:[0,1,0] neg_lo:[0,0,1] neg_hi:[0,0,1]
	v_add_f16_e32 v56, v65, v56
	v_add_f16_e32 v64, v138, v127
	v_sub_f16_e32 v52, v106, v110
	v_pk_mul_f16 v29, 0x2de8, v49 op_sel_hi:[0,1]
	v_pk_add_f16 v2, v25, v2
	v_pk_add_f16 v6, v10, v6
	v_bfi_b32 v10, 0xffff, v14, v22
	v_alignbit_b32 v14, s0, v13, 16
	v_pk_add_f16 v8, v26, v8
	v_pk_fma_f16 v11, 0xb461, v49, v11 op_sel:[0,0,1] op_sel_hi:[0,1,0] neg_lo:[0,0,1] neg_hi:[0,0,1]
	v_add_f16_e32 v56, v64, v56
	v_add_f16_e32 v9, v52, v12
	v_pack_b32_f16 v4, v50, v55
	v_pk_fma_f16 v50, 0x3bf7, v48, v29 op_sel:[0,0,1] op_sel_hi:[0,1,0] neg_lo:[0,1,0] neg_hi:[0,1,0]
	v_pk_add_f16 v3, v5, v3
	v_pk_add_f16 v5, v10, v6
	;; [unrolled: 1-line block ×4, first 2 shown]
	v_pk_fma_f16 v10, 0x3bf7, v48, v29 op_sel:[0,0,1] op_sel_hi:[0,1,0]
	v_bfi_b32 v6, 0xffff, v15, v26
	v_pk_add_f16 v0, v21, v0
	v_pack_b32_f16 v9, v9, v56
	v_pk_add_f16 v1, v50, v1
	v_pack_b32_f16 v2, v8, v2
	v_pk_add_f16 v3, v10, v3
	v_pack_b32_f16 v12, v111, v130
	v_pack_b32_f16 v21, v54, v59
	v_pk_add_f16 v5, v6, v5
	v_bfi_b32 v6, 0xffff, v13, v11
	ds_write2_b32 v7, v9, v4 offset0:3 offset1:4
	ds_write2_b32 v7, v21, v12 offset0:5 offset1:6
	ds_write2_b32 v7, v0, v2 offset1:7
	v_alignbit_b32 v0, v1, v3, 16
	v_alignbit_b32 v1, v3, v1, 16
	v_pk_add_f16 v4, v6, v5
	v_perm_b32 v2, v35, v24, 0x5040100
	v_perm_b32 v3, v46, v18, 0x5040100
	;; [unrolled: 1-line block ×6, first 2 shown]
	ds_write2_b32 v7, v1, v0 offset0:8 offset1:9
	ds_write2_b32 v7, v4, v2 offset0:10 offset1:11
	;; [unrolled: 1-line block ×4, first 2 shown]
	ds_write_b32 v7, v9 offset:64
.LBB0_7:
	s_or_b32 exec_lo, exec_lo, s4
	v_and_b32_e32 v0, 0xff, v37
	v_mov_b32_e32 v1, 10
	s_load_dwordx4 s[4:7], s[0:1], 0x0
	s_waitcnt lgkmcnt(0)
	s_barrier
	v_mul_lo_u16 v0, 0xf1, v0
	buffer_gl0_inv
	v_add_lshl_u32 v41, v23, v37, 2
	v_mov_b32_e32 v30, 0xbb
	v_cmp_gt_u16_e64 s0, 0x55, v37
	v_lshrrev_b16 v27, 12, v0
	v_add_nc_u32_e32 v10, 0x200, v41
	v_add_nc_u32_e32 v12, 0x400, v41
	;; [unrolled: 1-line block ×3, first 2 shown]
	v_mul_lo_u16 v0, v27, 17
	v_add_nc_u32_e32 v25, 0xc00, v41
	v_mul_u32_u24_sdwa v27, v27, v30 dst_sel:DWORD dst_unused:UNUSED_PAD src0_sel:WORD_0 src1_sel:DWORD
	v_add_nc_u32_e32 v31, 0x500, v41
	v_add_nc_u32_e32 v38, 0xb00, v41
	v_sub_nc_u16 v28, v37, v0
	v_mul_u32_u24_sdwa v0, v28, v1 dst_sel:DWORD dst_unused:UNUSED_PAD src0_sel:BYTE_0 src1_sel:DWORD
	v_add_nc_u32_sdwa v27, v27, v28 dst_sel:DWORD dst_unused:UNUSED_PAD src0_sel:DWORD src1_sel:BYTE_0
	v_lshlrev_b32_e32 v8, 2, v0
	v_add_lshl_u32 v48, v23, v27, 2
	s_clause 0x2
	global_load_dwordx4 v[4:7], v8, s[2:3]
	global_load_dwordx4 v[0:3], v8, s[2:3] offset:16
	global_load_dwordx2 v[21:22], v8, s[2:3] offset:32
	ds_read2_b32 v[8:9], v41 offset1:102
	ds_read_b32 v29, v41 offset:4080
	ds_read2_b32 v[10:11], v10 offset0:76 offset1:178
	ds_read2_b32 v[12:13], v12 offset0:152 offset1:254
	;; [unrolled: 1-line block ×4, first 2 shown]
	s_waitcnt vmcnt(0) lgkmcnt(0)
	s_barrier
	buffer_gl0_inv
	v_lshrrev_b32_e32 v30, 16, v9
	v_lshrrev_b32_e32 v32, 16, v29
	;; [unrolled: 1-line block ×10, first 2 shown]
	v_mul_f16_sdwa v23, v30, v4 dst_sel:DWORD dst_unused:UNUSED_PAD src0_sel:DWORD src1_sel:WORD_1
	v_mul_f16_sdwa v27, v9, v4 dst_sel:DWORD dst_unused:UNUSED_PAD src0_sel:DWORD src1_sel:WORD_1
	;; [unrolled: 1-line block ×8, first 2 shown]
	v_fma_f16 v9, v9, v4, -v23
	v_fmac_f16_e32 v27, v30, v4
	v_mul_f16_sdwa v56, v33, v6 dst_sel:DWORD dst_unused:UNUSED_PAD src0_sel:DWORD src1_sel:WORD_1
	v_mul_f16_sdwa v57, v11, v6 dst_sel:DWORD dst_unused:UNUSED_PAD src0_sel:DWORD src1_sel:WORD_1
	;; [unrolled: 1-line block ×12, first 2 shown]
	v_fma_f16 v10, v10, v5, -v54
	v_fmac_f16_e32 v55, v28, v5
	v_fma_f16 v23, v25, v3, -v66
	v_fma_f16 v28, v26, v21, -v68
	;; [unrolled: 1-line block ×3, first 2 shown]
	v_fmac_f16_e32 v71, v32, v22
	v_add_f16_e32 v25, v8, v9
	v_add_f16_sdwa v26, v8, v27 dst_sel:DWORD dst_unused:UNUSED_PAD src0_sel:WORD_1 src1_sel:DWORD
	v_fma_f16 v11, v11, v6, -v56
	v_fmac_f16_e32 v57, v33, v6
	v_fma_f16 v12, v12, v7, -v58
	v_fmac_f16_e32 v59, v34, v7
	;; [unrolled: 2-line block ×5, first 2 shown]
	v_fmac_f16_e32 v67, v52, v3
	v_fmac_f16_e32 v69, v53, v21
	v_add_f16_e32 v30, v9, v29
	v_add_f16_e32 v32, v27, v71
	v_sub_f16_e32 v9, v9, v29
	v_sub_f16_e32 v27, v27, v71
	v_add_f16_e32 v33, v10, v28
	v_sub_f16_e32 v49, v10, v28
	v_add_f16_e32 v10, v25, v10
	v_add_f16_e32 v25, v26, v55
	;; [unrolled: 1-line block ×3, first 2 shown]
	v_sub_f16_e32 v50, v55, v69
	v_add_f16_e32 v51, v11, v23
	v_sub_f16_e32 v53, v11, v23
	v_sub_f16_e32 v54, v57, v67
	;; [unrolled: 1-line block ×6, first 2 shown]
	v_mul_f16_e32 v26, 0xb853, v27
	v_mul_f16_e32 v55, 0xb853, v9
	;; [unrolled: 1-line block ×10, first 2 shown]
	v_add_f16_e32 v10, v10, v11
	v_add_f16_e32 v11, v25, v57
	;; [unrolled: 1-line block ×7, first 2 shown]
	v_mul_f16_e32 v78, 0xbb47, v50
	v_mul_f16_e32 v79, 0xbb47, v49
	;; [unrolled: 1-line block ×40, first 2 shown]
	v_fma_f16 v25, v30, 0x3abb, -v26
	v_fmamk_f16 v57, v32, 0x3abb, v55
	v_fmac_f16_e32 v26, 0x3abb, v30
	v_fma_f16 v55, v32, 0x3abb, -v55
	v_fma_f16 v110, v30, 0x36a6, -v72
	v_fmamk_f16 v111, v32, 0x36a6, v73
	v_fmac_f16_e32 v72, 0x36a6, v30
	v_fma_f16 v73, v32, 0x36a6, -v73
	;; [unrolled: 4-line block ×5, first 2 shown]
	v_add_f16_e32 v10, v10, v12
	v_add_f16_e32 v11, v11, v59
	v_fma_f16 v30, v33, 0x36a6, -v78
	v_fmamk_f16 v32, v34, 0x36a6, v79
	v_fmac_f16_e32 v78, 0x36a6, v33
	v_fma_f16 v79, v34, 0x36a6, -v79
	v_fma_f16 v118, v33, 0xb93d, -v80
	v_fmamk_f16 v119, v34, 0xb93d, v81
	v_fmac_f16_e32 v80, 0xb93d, v33
	v_fma_f16 v81, v34, 0xb93d, -v81
	;; [unrolled: 4-line block ×20, first 2 shown]
	v_add_f16_e32 v12, v8, v25
	v_add_f16_sdwa v25, v8, v57 dst_sel:DWORD dst_unused:UNUSED_PAD src0_sel:WORD_1 src1_sel:DWORD
	v_add_f16_e32 v26, v8, v26
	v_add_f16_sdwa v55, v8, v55 dst_sel:DWORD dst_unused:UNUSED_PAD src0_sel:WORD_1 src1_sel:DWORD
	;; [unrolled: 2-line block ×10, first 2 shown]
	v_add_f16_e32 v9, v10, v13
	v_add_f16_e32 v10, v11, v61
	;; [unrolled: 1-line block ×92, first 2 shown]
	v_pack_b32_f16 v10, v11, v12
	v_pack_b32_f16 v11, v13, v14
	;; [unrolled: 1-line block ×11, first 2 shown]
	ds_write2_b32 v48, v11, v12 offset0:34 offset1:51
	ds_write2_b32 v48, v13, v14 offset0:68 offset1:85
	ds_write2_b32 v48, v15, v27 offset0:102 offset1:119
	ds_write2_b32 v48, v28, v29 offset0:136 offset1:153
	ds_write_b32 v48, v30 offset:680
	ds_write2_b32 v48, v8, v10 offset1:17
	s_waitcnt lgkmcnt(0)
	s_barrier
	buffer_gl0_inv
	ds_read2_b32 v[29:30], v41 offset1:187
	ds_read2_b32 v[31:32], v31 offset0:54 offset1:241
	ds_read2_b32 v[27:28], v38 offset0:44 offset1:231
	s_and_saveexec_b32 s1, s0
	s_cbranch_execz .LBB0_9
; %bb.8:
	v_add_nc_u32_e32 v8, 0x100, v41
	v_add_nc_u32_e32 v9, 0x700, v41
	v_add_nc_u32_e32 v10, 0xd00, v41
	ds_read2_b32 v[33:34], v8 offset0:38 offset1:225
	ds_read2_b32 v[25:26], v9 offset0:28 offset1:215
	;; [unrolled: 1-line block ×3, first 2 shown]
	s_waitcnt lgkmcnt(2)
	v_lshrrev_b32_e32 v51, 16, v33
	v_lshrrev_b32_e32 v55, 16, v34
	s_waitcnt lgkmcnt(1)
	v_lshrrev_b32_e32 v54, 16, v25
	v_lshrrev_b32_e32 v53, 16, v26
	;; [unrolled: 3-line block ×3, first 2 shown]
.LBB0_9:
	s_or_b32 exec_lo, exec_lo, s1
	v_mad_u64_u32 v[8:9], null, v37, 20, s[2:3]
	s_waitcnt lgkmcnt(1)
	v_lshrrev_b32_e32 v58, 16, v31
	v_lshrrev_b32_e32 v59, 16, v32
	s_waitcnt lgkmcnt(0)
	v_lshrrev_b32_e32 v61, 16, v28
	v_lshrrev_b32_e32 v60, 16, v27
	v_lshl_add_u32 v38, v37, 2, v39
	s_clause 0x1
	global_load_dwordx4 v[12:15], v[8:9], off offset:680
	global_load_dword v50, v[8:9], off offset:696
	v_add_nc_u32_e32 v8, 0x66, v37
	v_add_nc_u32_e32 v9, 0xffffffab, v37
	;; [unrolled: 1-line block ×4, first 2 shown]
	v_cndmask_b32_e64 v8, v9, v8, s0
	v_mul_i32_i24_e32 v9, 20, v8
	v_mul_hi_i32_i24_e32 v8, 20, v8
	v_add_co_u32 v56, s1, s2, v9
	v_add_co_ci_u32_e64 v57, s1, s3, v8, s1
	s_clause 0x1
	global_load_dwordx4 v[8:11], v[56:57], off offset:680
	global_load_dword v49, v[56:57], off offset:696
	v_lshrrev_b32_e32 v57, 16, v30
	v_lshrrev_b32_e32 v56, 16, v29
	s_waitcnt vmcnt(3)
	v_mul_f16_sdwa v63, v30, v12 dst_sel:DWORD dst_unused:UNUSED_PAD src0_sel:DWORD src1_sel:WORD_1
	v_mul_f16_sdwa v66, v58, v13 dst_sel:DWORD dst_unused:UNUSED_PAD src0_sel:DWORD src1_sel:WORD_1
	;; [unrolled: 1-line block ×6, first 2 shown]
	s_waitcnt vmcnt(2)
	v_mul_f16_sdwa v72, v61, v50 dst_sel:DWORD dst_unused:UNUSED_PAD src0_sel:DWORD src1_sel:WORD_1
	v_mul_f16_sdwa v73, v28, v50 dst_sel:DWORD dst_unused:UNUSED_PAD src0_sel:DWORD src1_sel:WORD_1
	;; [unrolled: 1-line block ×4, first 2 shown]
	v_fmac_f16_e32 v63, v57, v12
	v_fma_f16 v31, v31, v13, -v66
	v_fmac_f16_e32 v67, v58, v13
	v_fma_f16 v32, v32, v14, -v68
	v_fmac_f16_e32 v69, v59, v14
	v_fmac_f16_e32 v71, v60, v15
	v_fma_f16 v28, v28, v50, -v72
	v_fmac_f16_e32 v73, v61, v50
	v_fma_f16 v30, v30, v12, -v62
	v_fma_f16 v27, v27, v15, -v70
	v_add_f16_e32 v57, v29, v31
	v_sub_f16_e32 v59, v67, v71
	v_add_f16_e32 v60, v56, v67
	v_add_f16_e32 v61, v67, v71
	;; [unrolled: 1-line block ×3, first 2 shown]
	v_sub_f16_e32 v67, v69, v73
	v_add_f16_e32 v68, v63, v69
	v_add_f16_e32 v69, v69, v73
	s_waitcnt vmcnt(1)
	v_mul_f16_sdwa v70, v55, v8 dst_sel:DWORD dst_unused:UNUSED_PAD src0_sel:DWORD src1_sel:WORD_1
	v_mul_f16_sdwa v76, v53, v10 dst_sel:DWORD dst_unused:UNUSED_PAD src0_sel:DWORD src1_sel:WORD_1
	;; [unrolled: 1-line block ×3, first 2 shown]
	s_waitcnt vmcnt(0)
	v_mul_f16_sdwa v80, v35, v49 dst_sel:DWORD dst_unused:UNUSED_PAD src0_sel:DWORD src1_sel:WORD_1
	v_mul_f16_sdwa v81, v24, v49 dst_sel:DWORD dst_unused:UNUSED_PAD src0_sel:DWORD src1_sel:WORD_1
	v_add_f16_e32 v58, v31, v27
	v_sub_f16_e32 v31, v31, v27
	v_add_f16_e32 v62, v30, v32
	v_sub_f16_e32 v32, v32, v28
	v_mul_f16_sdwa v72, v34, v8 dst_sel:DWORD dst_unused:UNUSED_PAD src0_sel:DWORD src1_sel:WORD_1
	v_mul_f16_sdwa v74, v54, v9 dst_sel:DWORD dst_unused:UNUSED_PAD src0_sel:DWORD src1_sel:WORD_1
	;; [unrolled: 1-line block ×4, first 2 shown]
	v_add_f16_e32 v27, v57, v27
	v_add_f16_e32 v57, v60, v71
	v_fmac_f16_e32 v56, -0.5, v61
	v_fmac_f16_e32 v30, -0.5, v66
	;; [unrolled: 1-line block ×3, first 2 shown]
	v_fma_f16 v60, v34, v8, -v70
	v_fma_f16 v26, v26, v10, -v76
	v_fmac_f16_e32 v77, v53, v10
	v_fma_f16 v34, v24, v49, -v80
	v_fmac_f16_e32 v81, v35, v49
	v_mul_f16_sdwa v78, v52, v11 dst_sel:DWORD dst_unused:UNUSED_PAD src0_sel:DWORD src1_sel:WORD_1
	v_fmac_f16_e32 v29, -0.5, v58
	v_add_f16_e32 v28, v62, v28
	v_add_f16_e32 v58, v68, v73
	v_fmac_f16_e32 v72, v55, v8
	v_fma_f16 v25, v25, v9, -v74
	v_fmac_f16_e32 v75, v54, v9
	v_fmac_f16_e32 v79, v52, v11
	v_fmamk_f16 v53, v31, 0xbaee, v56
	v_fmac_f16_e32 v56, 0x3aee, v31
	v_fmamk_f16 v31, v67, 0x3aee, v30
	v_fmamk_f16 v54, v32, 0xbaee, v63
	v_fmac_f16_e32 v63, 0x3aee, v32
	v_add_f16_e32 v62, v26, v34
	v_add_f16_e32 v68, v77, v81
	v_fma_f16 v23, v23, v11, -v78
	v_fmamk_f16 v35, v59, 0x3aee, v29
	v_fmac_f16_e32 v29, 0xbaee, v59
	v_fmac_f16_e32 v30, 0xbaee, v67
	v_add_f16_e32 v24, v27, v28
	v_sub_f16_e32 v27, v27, v28
	v_add_f16_e32 v28, v33, v25
	v_add_f16_e32 v59, v75, v79
	;; [unrolled: 1-line block ×3, first 2 shown]
	v_sub_f16_e32 v66, v77, v81
	v_add_f16_e32 v67, v72, v77
	v_sub_f16_e32 v26, v26, v34
	v_mul_f16_e32 v69, 0x3aee, v54
	v_mul_f16_e32 v71, 0xbaee, v31
	v_mul_f16_e32 v73, -0.5, v63
	v_fmac_f16_e32 v60, -0.5, v62
	v_fmac_f16_e32 v72, -0.5, v68
	v_add_f16_e32 v52, v57, v58
	v_sub_f16_e32 v55, v57, v58
	v_add_f16_e32 v32, v25, v23
	v_add_f16_e32 v58, v51, v75
	v_sub_f16_e32 v25, v25, v23
	v_mul_f16_e32 v70, -0.5, v30
	v_add_f16_e32 v23, v28, v23
	v_fmac_f16_e32 v51, -0.5, v59
	v_add_f16_e32 v34, v61, v34
	v_fmac_f16_e32 v69, 0.5, v31
	v_fmac_f16_e32 v71, 0.5, v54
	v_fmac_f16_e32 v73, 0xbaee, v30
	v_fmamk_f16 v30, v66, 0x3aee, v60
	v_fmac_f16_e32 v60, 0xbaee, v66
	v_fmamk_f16 v66, v26, 0xbaee, v72
	v_fmac_f16_e32 v72, 0x3aee, v26
	v_sub_f16_e32 v57, v75, v79
	v_fmac_f16_e32 v33, -0.5, v32
	v_fmac_f16_e32 v70, 0x3aee, v63
	v_fmamk_f16 v68, v25, 0xbaee, v51
	v_fmac_f16_e32 v51, 0x3aee, v25
	v_add_f16_e32 v28, v23, v34
	v_sub_f16_e32 v31, v23, v34
	v_add_f16_e32 v25, v35, v69
	v_add_f16_e32 v63, v53, v71
	v_add_f16_e32 v62, v56, v73
	v_sub_f16_e32 v34, v35, v69
	v_sub_f16_e32 v61, v53, v71
	;; [unrolled: 1-line block ×3, first 2 shown]
	v_mul_f16_e32 v23, 0x3aee, v66
	v_mul_f16_e32 v53, -0.5, v60
	v_mul_f16_e32 v56, 0xbaee, v30
	v_mul_f16_e32 v69, -0.5, v72
	v_add_f16_e32 v32, v58, v79
	v_add_f16_e32 v58, v67, v81
	v_fmamk_f16 v67, v57, 0x3aee, v33
	v_fmac_f16_e32 v33, 0xbaee, v57
	v_fmac_f16_e32 v23, 0.5, v30
	v_fmac_f16_e32 v53, 0x3aee, v72
	v_fmac_f16_e32 v56, 0.5, v66
	v_fmac_f16_e32 v69, 0xbaee, v60
	v_add_f16_e32 v26, v29, v70
	v_sub_f16_e32 v35, v29, v70
	v_pack_b32_f16 v74, v24, v52
	v_add_f16_e32 v57, v32, v58
	v_sub_f16_e32 v54, v32, v58
	v_pack_b32_f16 v70, v25, v63
	v_add_f16_e32 v29, v67, v23
	v_add_f16_e32 v30, v33, v53
	;; [unrolled: 1-line block ×4, first 2 shown]
	v_sub_f16_e32 v32, v67, v23
	v_sub_f16_e32 v33, v33, v53
	;; [unrolled: 1-line block ×4, first 2 shown]
	v_pack_b32_f16 v75, v27, v55
	v_pack_b32_f16 v71, v26, v62
	;; [unrolled: 1-line block ×4, first 2 shown]
	ds_write2_b32 v38, v74, v70 offset1:187
	ds_write2_b32 v64, v71, v75 offset0:54 offset1:241
	ds_write2_b32 v65, v73, v66 offset0:44 offset1:231
	s_and_saveexec_b32 s1, s0
	s_cbranch_execz .LBB0_11
; %bb.10:
	v_perm_b32 v23, v57, v28, 0x5040100
	v_perm_b32 v51, v60, v29, 0x5040100
	v_add_nc_u32_e32 v64, 0x100, v38
	v_perm_b32 v65, v58, v30, 0x5040100
	v_perm_b32 v66, v54, v31, 0x5040100
	v_add_nc_u32_e32 v67, 0x700, v38
	;; [unrolled: 3-line block ×3, first 2 shown]
	ds_write2_b32 v64, v23, v51 offset0:38 offset1:225
	ds_write2_b32 v67, v65, v66 offset0:28 offset1:215
	;; [unrolled: 1-line block ×3, first 2 shown]
.LBB0_11:
	s_or_b32 exec_lo, exec_lo, s1
	s_waitcnt lgkmcnt(0)
	s_barrier
	buffer_gl0_inv
	s_and_saveexec_b32 s2, vcc_lo
	s_cbranch_execz .LBB0_13
; %bb.12:
	v_add_co_u32 v23, s1, s8, v36
	v_add_co_ci_u32_e64 v51, null, s9, 0, s1
	v_add_nc_u32_e32 v95, 0x400, v38
	v_add_co_u32 v64, s1, 0x1000, v23
	v_add_co_ci_u32_e64 v65, s1, 0, v51, s1
	v_add_co_u32 v66, s1, 0x1188, v23
	v_add_co_ci_u32_e64 v67, s1, 0, v51, s1
	v_add_nc_u32_e32 v96, 0x800, v38
	s_clause 0x5
	global_load_dword v80, v[64:65], off offset:392
	global_load_dword v81, v[66:67], off offset:264
	;; [unrolled: 1-line block ×6, first 2 shown]
	v_add_co_u32 v64, s1, 0x1800, v23
	v_add_co_ci_u32_e64 v65, s1, 0, v51, s1
	s_clause 0x6
	global_load_dword v86, v[66:67], off offset:1584
	global_load_dword v87, v[66:67], off offset:1848
	;; [unrolled: 1-line block ×7, first 2 shown]
	v_add_co_u32 v66, s1, 0x2000, v23
	v_add_co_ci_u32_e64 v67, s1, 0, v51, s1
	s_clause 0x3
	global_load_dword v23, v[64:65], off offset:1776
	global_load_dword v51, v[64:65], off offset:2040
	;; [unrolled: 1-line block ×4, first 2 shown]
	ds_read2_b32 v[64:65], v38 offset1:66
	ds_read2_b32 v[66:67], v38 offset0:132 offset1:198
	v_add_nc_u32_e32 v98, 0xc00, v38
	ds_read_b32 v97, v38 offset:4224
	ds_read2_b32 v[68:69], v95 offset0:8 offset1:74
	ds_read2_b32 v[70:71], v95 offset0:140 offset1:206
	ds_read2_b32 v[72:73], v96 offset0:16 offset1:82
	ds_read2_b32 v[74:75], v96 offset0:148 offset1:214
	ds_read2_b32 v[76:77], v98 offset0:24 offset1:90
	ds_read2_b32 v[78:79], v98 offset0:156 offset1:222
	s_waitcnt lgkmcnt(8)
	v_lshrrev_b32_e32 v99, 16, v64
	v_lshrrev_b32_e32 v100, 16, v65
	s_waitcnt lgkmcnt(7)
	v_lshrrev_b32_e32 v101, 16, v66
	v_lshrrev_b32_e32 v102, 16, v67
	;; [unrolled: 3-line block ×5, first 2 shown]
	v_lshrrev_b32_e32 v103, 16, v97
	s_waitcnt lgkmcnt(2)
	v_lshrrev_b32_e32 v110, 16, v74
	v_lshrrev_b32_e32 v111, 16, v75
	s_waitcnt lgkmcnt(1)
	v_lshrrev_b32_e32 v112, 16, v76
	;; [unrolled: 3-line block ×3, first 2 shown]
	v_lshrrev_b32_e32 v115, 16, v79
	s_waitcnt vmcnt(16)
	v_mul_f16_sdwa v116, v99, v80 dst_sel:DWORD dst_unused:UNUSED_PAD src0_sel:DWORD src1_sel:WORD_1
	v_mul_f16_sdwa v117, v64, v80 dst_sel:DWORD dst_unused:UNUSED_PAD src0_sel:DWORD src1_sel:WORD_1
	s_waitcnt vmcnt(15)
	v_mul_f16_sdwa v118, v100, v81 dst_sel:DWORD dst_unused:UNUSED_PAD src0_sel:DWORD src1_sel:WORD_1
	v_mul_f16_sdwa v119, v65, v81 dst_sel:DWORD dst_unused:UNUSED_PAD src0_sel:DWORD src1_sel:WORD_1
	s_waitcnt vmcnt(14)
	v_mul_f16_sdwa v120, v101, v82 dst_sel:DWORD dst_unused:UNUSED_PAD src0_sel:DWORD src1_sel:WORD_1
	v_mul_f16_sdwa v121, v66, v82 dst_sel:DWORD dst_unused:UNUSED_PAD src0_sel:DWORD src1_sel:WORD_1
	s_waitcnt vmcnt(13)
	v_mul_f16_sdwa v122, v102, v83 dst_sel:DWORD dst_unused:UNUSED_PAD src0_sel:DWORD src1_sel:WORD_1
	v_mul_f16_sdwa v123, v67, v83 dst_sel:DWORD dst_unused:UNUSED_PAD src0_sel:DWORD src1_sel:WORD_1
	s_waitcnt vmcnt(12)
	v_mul_f16_sdwa v124, v104, v84 dst_sel:DWORD dst_unused:UNUSED_PAD src0_sel:DWORD src1_sel:WORD_1
	v_mul_f16_sdwa v125, v68, v84 dst_sel:DWORD dst_unused:UNUSED_PAD src0_sel:DWORD src1_sel:WORD_1
	s_waitcnt vmcnt(11)
	v_mul_f16_sdwa v126, v105, v85 dst_sel:DWORD dst_unused:UNUSED_PAD src0_sel:DWORD src1_sel:WORD_1
	v_mul_f16_sdwa v127, v69, v85 dst_sel:DWORD dst_unused:UNUSED_PAD src0_sel:DWORD src1_sel:WORD_1
	s_waitcnt vmcnt(10)
	v_mul_f16_sdwa v128, v106, v86 dst_sel:DWORD dst_unused:UNUSED_PAD src0_sel:DWORD src1_sel:WORD_1
	v_mul_f16_sdwa v129, v70, v86 dst_sel:DWORD dst_unused:UNUSED_PAD src0_sel:DWORD src1_sel:WORD_1
	s_waitcnt vmcnt(9)
	v_mul_f16_sdwa v130, v107, v87 dst_sel:DWORD dst_unused:UNUSED_PAD src0_sel:DWORD src1_sel:WORD_1
	v_mul_f16_sdwa v131, v71, v87 dst_sel:DWORD dst_unused:UNUSED_PAD src0_sel:DWORD src1_sel:WORD_1
	s_waitcnt vmcnt(8)
	v_mul_f16_sdwa v132, v108, v88 dst_sel:DWORD dst_unused:UNUSED_PAD src0_sel:DWORD src1_sel:WORD_1
	v_mul_f16_sdwa v133, v72, v88 dst_sel:DWORD dst_unused:UNUSED_PAD src0_sel:DWORD src1_sel:WORD_1
	s_waitcnt vmcnt(7)
	v_mul_f16_sdwa v134, v109, v89 dst_sel:DWORD dst_unused:UNUSED_PAD src0_sel:DWORD src1_sel:WORD_1
	v_mul_f16_sdwa v135, v73, v89 dst_sel:DWORD dst_unused:UNUSED_PAD src0_sel:DWORD src1_sel:WORD_1
	s_waitcnt vmcnt(6)
	v_mul_f16_sdwa v136, v110, v90 dst_sel:DWORD dst_unused:UNUSED_PAD src0_sel:DWORD src1_sel:WORD_1
	v_mul_f16_sdwa v137, v74, v90 dst_sel:DWORD dst_unused:UNUSED_PAD src0_sel:DWORD src1_sel:WORD_1
	s_waitcnt vmcnt(5)
	v_mul_f16_sdwa v138, v111, v91 dst_sel:DWORD dst_unused:UNUSED_PAD src0_sel:DWORD src1_sel:WORD_1
	v_mul_f16_sdwa v139, v75, v91 dst_sel:DWORD dst_unused:UNUSED_PAD src0_sel:DWORD src1_sel:WORD_1
	s_waitcnt vmcnt(4)
	v_mul_f16_sdwa v140, v112, v92 dst_sel:DWORD dst_unused:UNUSED_PAD src0_sel:DWORD src1_sel:WORD_1
	v_mul_f16_sdwa v141, v76, v92 dst_sel:DWORD dst_unused:UNUSED_PAD src0_sel:DWORD src1_sel:WORD_1
	s_waitcnt vmcnt(3)
	v_mul_f16_sdwa v142, v113, v23 dst_sel:DWORD dst_unused:UNUSED_PAD src0_sel:DWORD src1_sel:WORD_1
	v_mul_f16_sdwa v143, v77, v23 dst_sel:DWORD dst_unused:UNUSED_PAD src0_sel:DWORD src1_sel:WORD_1
	s_waitcnt vmcnt(2)
	v_mul_f16_sdwa v144, v114, v51 dst_sel:DWORD dst_unused:UNUSED_PAD src0_sel:DWORD src1_sel:WORD_1
	v_mul_f16_sdwa v145, v78, v51 dst_sel:DWORD dst_unused:UNUSED_PAD src0_sel:DWORD src1_sel:WORD_1
	s_waitcnt vmcnt(1)
	v_mul_f16_sdwa v146, v115, v93 dst_sel:DWORD dst_unused:UNUSED_PAD src0_sel:DWORD src1_sel:WORD_1
	v_mul_f16_sdwa v147, v79, v93 dst_sel:DWORD dst_unused:UNUSED_PAD src0_sel:DWORD src1_sel:WORD_1
	s_waitcnt vmcnt(0)
	v_mul_f16_sdwa v148, v103, v94 dst_sel:DWORD dst_unused:UNUSED_PAD src0_sel:DWORD src1_sel:WORD_1
	v_mul_f16_sdwa v149, v97, v94 dst_sel:DWORD dst_unused:UNUSED_PAD src0_sel:DWORD src1_sel:WORD_1
	v_fma_f16 v64, v64, v80, -v116
	v_fmac_f16_e32 v117, v99, v80
	v_fma_f16 v65, v65, v81, -v118
	v_fmac_f16_e32 v119, v100, v81
	;; [unrolled: 2-line block ×17, first 2 shown]
	v_pack_b32_f16 v64, v64, v117
	v_pack_b32_f16 v65, v65, v119
	;; [unrolled: 1-line block ×17, first 2 shown]
	ds_write2_b32 v38, v64, v65 offset1:66
	ds_write2_b32 v38, v66, v67 offset0:132 offset1:198
	ds_write2_b32 v95, v68, v69 offset0:8 offset1:74
	;; [unrolled: 1-line block ×7, first 2 shown]
	ds_write_b32 v38, v78 offset:4224
.LBB0_13:
	s_or_b32 exec_lo, exec_lo, s2
	s_waitcnt lgkmcnt(0)
	s_barrier
	buffer_gl0_inv
	s_and_saveexec_b32 s1, vcc_lo
	s_cbranch_execz .LBB0_15
; %bb.14:
	v_add_nc_u32_e32 v17, 0x400, v38
	v_add_nc_u32_e32 v18, 0x800, v38
	;; [unrolled: 1-line block ×3, first 2 shown]
	ds_read2_b32 v[24:25], v38 offset1:66
	ds_read2_b32 v[26:27], v38 offset0:132 offset1:198
	ds_read2_b32 v[34:35], v17 offset0:8 offset1:74
	;; [unrolled: 1-line block ×7, first 2 shown]
	ds_read_b32 v42, v38 offset:4224
	s_waitcnt lgkmcnt(8)
	v_lshrrev_b32_e32 v52, 16, v24
	v_lshrrev_b32_e32 v63, 16, v25
	s_waitcnt lgkmcnt(7)
	v_lshrrev_b32_e32 v62, 16, v26
	v_lshrrev_b32_e32 v55, 16, v27
	;; [unrolled: 3-line block ×8, first 2 shown]
	s_waitcnt lgkmcnt(0)
	v_lshrrev_b32_e32 v45, 16, v42
.LBB0_15:
	s_or_b32 exec_lo, exec_lo, s1
	v_sub_f16_e32 v88, v63, v45
	v_add_f16_e32 v97, v45, v63
	v_add_f16_e32 v64, v42, v25
	v_sub_f16_e32 v67, v25, v42
	v_sub_f16_e32 v89, v62, v43
	v_mul_f16_e32 v83, 0xba62, v88
	v_mul_f16_e32 v82, 0xb8d2, v97
	v_add_f16_e32 v98, v43, v62
	v_add_f16_e32 v65, v20, v26
	v_sub_f16_e32 v70, v26, v20
	v_fma_f16 v23, v64, 0xb8d2, -v83
	v_fmamk_f16 v51, v67, 0xba62, v82
	v_mul_f16_e32 v84, 0x3bb2, v89
	v_mul_f16_e32 v92, 0xb461, v98
	v_sub_f16_e32 v90, v55, v44
	v_add_f16_e32 v103, v44, v55
	v_add_f16_e32 v23, v24, v23
	v_add_f16_e32 v51, v52, v51
	v_fma_f16 v68, v65, 0xb461, -v84
	v_fmamk_f16 v71, v70, 0x3bb2, v92
	v_add_f16_e32 v66, v19, v27
	v_mul_f16_e32 v85, 0xb5c8, v90
	v_sub_f16_e32 v69, v27, v19
	v_mul_f16_e32 v133, 0x3b76, v103
	v_sub_f16_e32 v93, v61, v46
	v_add_f16_e32 v112, v46, v61
	v_add_f16_e32 v23, v68, v23
	v_add_f16_e32 v51, v71, v51
	v_fma_f16 v72, v66, 0x3b76, -v85
	v_fmamk_f16 v73, v69, 0xb5c8, v133
	v_add_f16_e32 v68, v18, v34
	v_sub_f16_e32 v71, v34, v18
	v_mul_f16_e32 v86, 0xb836, v93
	v_mul_f16_e32 v136, 0xbacd, v112
	v_sub_f16_e32 v94, v59, v47
	v_add_f16_e32 v102, v47, v59
	v_add_f16_e32 v23, v72, v23
	v_add_f16_e32 v51, v73, v51
	v_fma_f16 v73, v68, 0xbacd, -v86
	v_fmamk_f16 v75, v71, 0xb836, v136
	v_add_f16_e32 v72, v17, v35
	v_mul_f16_e32 v87, 0x3bf7, v94
	v_sub_f16_e32 v74, v35, v17
	v_mul_f16_e32 v140, 0x2de8, v102
	v_sub_f16_e32 v95, v57, v53
	v_add_f16_e32 v107, v53, v57
	v_add_f16_e32 v23, v73, v23
	v_add_f16_e32 v51, v75, v51
	v_fma_f16 v76, v72, 0x2de8, -v87
	v_fmamk_f16 v77, v74, 0x3bf7, v140
	v_add_f16_e32 v73, v33, v28
	v_sub_f16_e32 v75, v28, v33
	;; [unrolled: 20-line block ×3, first 2 shown]
	v_mul_f16_e32 v139, 0x3b29, v91
	v_mul_f16_e32 v143, 0x3722, v114
	v_add_f16_e32 v23, v80, v23
	v_add_f16_e32 v51, v81, v51
	v_fma_f16 v80, v77, 0x3722, -v139
	v_fmamk_f16 v81, v79, 0x3b29, v143
	s_barrier
	buffer_gl0_inv
	v_add_f16_e32 v23, v80, v23
	v_add_f16_e32 v51, v81, v51
	s_and_saveexec_b32 s1, vcc_lo
	s_cbranch_execz .LBB0_17
; %bb.16:
	v_mul_f16_e32 v118, 0xbbdd, v97
	v_mul_f16_e32 v104, 0x3b76, v98
	;; [unrolled: 1-line block ×5, first 2 shown]
	v_fmamk_f16 v80, v67, 0x31e1, v118
	v_fmamk_f16 v81, v70, 0xb5c8, v104
	v_mul_f16_e32 v115, 0xb8d2, v102
	v_mul_f16_e32 v121, 0x35c8, v89
	v_fmamk_f16 v99, v64, 0xbbdd, v120
	v_add_f16_e32 v80, v52, v80
	v_mul_f16_e32 v116, 0x3722, v107
	v_mul_f16_e32 v125, 0xb836, v90
	v_fmamk_f16 v100, v65, 0x3b76, v121
	v_add_f16_e32 v99, v24, v99
	v_add_f16_e32 v80, v81, v80
	v_fmamk_f16 v81, v69, 0x3836, v105
	v_mul_f16_e32 v117, 0xb461, v108
	v_mul_f16_e32 v126, 0x3964, v93
	v_add_f16_e32 v99, v100, v99
	v_fmamk_f16 v100, v66, 0xbacd, v125
	v_add_f16_e32 v80, v81, v80
	v_fmamk_f16 v81, v71, 0xb964, v106
	v_mul_f16_e32 v128, 0xba62, v94
	v_mul_f16_e32 v109, 0xbacd, v97
	v_add_f16_e32 v99, v100, v99
	v_fmamk_f16 v100, v68, 0x39e9, v126
	v_add_f16_e32 v80, v81, v80
	v_fmamk_f16 v81, v74, 0x3a62, v115
	v_mul_f16_e32 v119, 0xba62, v67
	v_mul_f16_e32 v131, 0x3b29, v95
	v_fmamk_f16 v101, v67, 0x3836, v109
	v_mul_f16_e32 v146, 0x3bb2, v70
	v_add_f16_e32 v80, v81, v80
	v_fmamk_f16 v81, v75, 0xbb29, v116
	v_mul_f16_e32 v127, 0x2de8, v114
	v_fmamk_f16 v110, v73, 0x3722, v131
	v_mul_f16_e32 v134, 0xbbb2, v96
	v_add_f16_e32 v101, v52, v101
	v_add_f16_e32 v80, v81, v80
	v_fmamk_f16 v81, v78, 0x3bb2, v117
	v_sub_f16_e32 v82, v82, v119
	v_mul_f16_e32 v148, 0xb5c8, v69
	v_fmamk_f16 v113, v79, 0xbbf7, v127
	v_sub_f16_e32 v92, v92, v146
	v_add_f16_e32 v80, v81, v80
	v_add_f16_e32 v81, v100, v99
	v_fmamk_f16 v100, v72, 0xb8d2, v128
	v_mul_f16_e32 v99, 0x3722, v98
	v_add_f16_e32 v82, v52, v82
	v_mul_f16_e32 v144, 0xb8d2, v64
	v_mul_f16_e32 v150, 0xb836, v71
	v_add_f16_e32 v81, v100, v81
	v_fmamk_f16 v111, v70, 0xbb29, v99
	v_mul_f16_e32 v100, 0x2de8, v103
	v_add_f16_e32 v80, v113, v80
	v_add_f16_e32 v92, v92, v82
	;; [unrolled: 1-line block ×3, first 2 shown]
	v_fmamk_f16 v110, v76, 0xb461, v134
	v_add_f16_e32 v111, v111, v101
	v_fmamk_f16 v122, v69, 0x3bf7, v100
	v_mul_f16_e32 v101, 0xb8d2, v112
	v_sub_f16_e32 v148, v133, v148
	v_add_f16_e32 v81, v110, v81
	v_mul_f16_e32 v110, 0x3b76, v102
	v_add_f16_e32 v111, v122, v111
	v_fmamk_f16 v113, v71, 0xba62, v101
	v_mul_f16_e32 v145, 0xb461, v65
	v_mul_f16_e32 v152, 0x3bf7, v74
	;; [unrolled: 1-line block ×4, first 2 shown]
	v_add_f16_e32 v113, v113, v111
	v_fmamk_f16 v123, v74, 0x35c8, v110
	v_mul_f16_e32 v111, 0xbbdd, v107
	v_add_f16_e32 v83, v144, v83
	v_add_f16_e32 v92, v148, v92
	v_sub_f16_e32 v144, v136, v150
	v_mul_f16_e32 v147, 0x3b76, v66
	v_mul_f16_e32 v153, 0xb964, v75
	v_fmamk_f16 v122, v64, 0xbacd, v130
	v_mul_f16_e32 v132, 0x3b29, v89
	v_fmamk_f16 v155, v77, 0x2de8, v135
	v_add_f16_e32 v160, v123, v113
	v_fmamk_f16 v161, v75, 0x31e1, v111
	v_mul_f16_e32 v113, 0x39e9, v108
	v_add_f16_e32 v83, v24, v83
	v_add_f16_e32 v84, v145, v84
	;; [unrolled: 1-line block ×3, first 2 shown]
	v_sub_f16_e32 v140, v140, v152
	v_mul_f16_e32 v149, 0xbacd, v68
	v_mul_f16_e32 v154, 0xb1e1, v78
	v_add_f16_e32 v124, v24, v122
	v_fmamk_f16 v129, v65, 0x3722, v132
	v_mul_f16_e32 v122, 0xbbf7, v90
	v_add_f16_e32 v81, v155, v81
	v_add_f16_e32 v155, v161, v160
	v_fmamk_f16 v161, v78, 0xb964, v113
	v_mul_f16_e32 v119, 0xb461, v114
	v_add_f16_e32 v84, v84, v83
	v_add_f16_e32 v85, v147, v85
	;; [unrolled: 1-line block ×3, first 2 shown]
	v_sub_f16_e32 v140, v141, v153
	v_mul_f16_e32 v153, 0xb461, v97
	v_mul_f16_e32 v151, 0x2de8, v72
	v_add_f16_e32 v124, v129, v124
	v_fmamk_f16 v129, v66, 0x2de8, v122
	v_mul_f16_e32 v123, 0x3a62, v93
	v_add_f16_e32 v146, v161, v155
	v_fmamk_f16 v155, v79, 0x3bb2, v119
	v_add_f16_e32 v84, v85, v84
	v_add_f16_e32 v85, v149, v86
	;; [unrolled: 1-line block ×3, first 2 shown]
	v_sub_f16_e32 v92, v142, v154
	v_fmamk_f16 v140, v67, 0x3bb2, v153
	v_mul_f16_e32 v154, 0xbacd, v98
	v_mul_f16_e32 v156, 0x39e9, v73
	;; [unrolled: 1-line block ×3, first 2 shown]
	v_add_f16_e32 v129, v129, v124
	v_fmamk_f16 v160, v68, 0xb8d2, v123
	v_mul_f16_e32 v124, 0xb5c8, v94
	v_add_f16_e32 v82, v155, v146
	v_add_f16_e32 v84, v85, v84
	;; [unrolled: 1-line block ×5, first 2 shown]
	v_fmamk_f16 v92, v70, 0xb836, v154
	v_mul_f16_e32 v155, 0x39e9, v103
	v_mul_f16_e32 v157, 0xbbdd, v76
	v_add_f16_e32 v160, v160, v129
	v_fmamk_f16 v162, v72, 0x3b76, v124
	v_mul_f16_e32 v129, 0xb1e1, v95
	v_add_f16_e32 v84, v85, v84
	v_add_f16_e32 v85, v156, v137
	v_sub_f16_e32 v137, v143, v159
	v_add_f16_e32 v87, v92, v87
	v_fmamk_f16 v92, v69, 0xb964, v155
	v_mul_f16_e32 v156, 0x3722, v112
	v_mul_f16_e32 v158, 0x3722, v77
	v_add_f16_e32 v160, v162, v160
	v_fmamk_f16 v161, v73, 0xbbdd, v129
	v_mul_f16_e32 v133, 0x3964, v96
	v_add_f16_e32 v85, v85, v84
	v_add_f16_e32 v138, v157, v138
	;; [unrolled: 1-line block ×4, first 2 shown]
	v_fmamk_f16 v87, v71, 0x3b29, v156
	v_mul_f16_e32 v157, 0xbbdd, v102
	v_add_f16_e32 v146, v161, v160
	v_fmamk_f16 v148, v76, 0x39e9, v133
	v_add_f16_e32 v85, v138, v85
	v_add_f16_e32 v92, v158, v139
	v_mul_f16_e32 v152, 0xbbb2, v88
	v_add_f16_e32 v86, v87, v86
	v_fmamk_f16 v87, v74, 0x31e1, v157
	v_mul_f16_e32 v161, 0x2de8, v107
	v_add_f16_e32 v144, v148, v146
	v_add_f16_e32 v85, v92, v85
	v_fmamk_f16 v92, v64, 0xb461, v152
	v_mul_f16_e32 v143, 0x3836, v89
	v_add_f16_e32 v86, v87, v86
	v_fmamk_f16 v87, v75, 0xbbf7, v161
	v_mul_f16_e32 v146, 0x3b76, v108
	;; [unrolled: 3-line block ×6, first 2 shown]
	v_mul_f16_e32 v136, 0xbbb2, v91
	v_add_f16_e32 v92, v139, v92
	v_fmamk_f16 v140, v68, 0x3722, v138
	v_mul_f16_e32 v139, 0xb1e1, v94
	v_add_f16_e32 v86, v87, v86
	v_fmamk_f16 v87, v67, 0x3bf7, v163
	v_mul_f16_e32 v148, 0xbbdd, v98
	v_fmamk_f16 v145, v77, 0xb461, v136
	v_add_f16_e32 v92, v140, v92
	v_fmamk_f16 v141, v72, 0xbbdd, v139
	v_mul_f16_e32 v140, 0x3bf7, v95
	v_add_f16_e32 v87, v52, v87
	v_fmamk_f16 v142, v70, 0x31e1, v148
	v_mul_f16_e32 v149, 0xb461, v103
	v_add_f16_e32 v83, v145, v144
	v_add_f16_e32 v92, v141, v92
	v_fmamk_f16 v144, v73, 0x2de8, v140
	v_mul_f16_e32 v141, 0xb5c8, v96
	v_add_f16_e32 v87, v142, v87
	v_fmamk_f16 v145, v69, 0xbbb2, v149
	v_mul_f16_e32 v150, 0x3b76, v112
	;; [unrolled: 3-line block ×12, first 2 shown]
	v_add_f16_e32 v25, v25, v24
	v_add_f16_e32 v169, v168, v92
	v_fmamk_f16 v170, v68, 0x3b76, v167
	v_mul_f16_e32 v168, 0xbb29, v94
	v_add_f16_e32 v92, v145, v144
	v_fmamk_f16 v145, v67, 0x3b29, v158
	v_mul_f16_e32 v144, 0xb8d2, v98
	v_add_f16_e32 v25, v26, v25
	v_add_f16_e32 v170, v170, v169
	v_fmamk_f16 v171, v72, 0x3722, v168
	v_mul_f16_e32 v169, 0xb836, v95
	v_add_f16_e32 v172, v52, v145
	v_fmamk_f16 v173, v70, 0x3a62, v144
	v_mul_f16_e32 v145, 0xbbdd, v103
	v_add_f16_e32 v25, v27, v25
	v_add_f16_e32 v171, v171, v170
	v_fmamk_f16 v174, v73, 0xbacd, v169
	v_add_f16_e32 v172, v173, v172
	v_fmamk_f16 v173, v69, 0xb1e1, v145
	v_mul_f16_e32 v170, 0xb461, v112
	v_add_f16_e32 v25, v34, v25
	v_add_f16_e32 v26, v174, v171
	v_mul_f16_e32 v177, 0x3a62, v96
	v_add_f16_e32 v171, v173, v172
	v_fmamk_f16 v172, v71, 0xbbb2, v170
	v_mul_f16_e32 v27, 0x39e9, v102
	v_mul_f16_e32 v175, 0xbb29, v88
	v_add_f16_e32 v25, v35, v25
	v_fmamk_f16 v173, v76, 0xb8d2, v177
	v_add_f16_e32 v171, v172, v171
	v_fmamk_f16 v34, v74, 0xb964, v27
	v_fmamk_f16 v172, v64, 0x3722, v175
	v_mul_f16_e32 v176, 0xba62, v89
	v_add_f16_e32 v25, v28, v25
	v_add_f16_e32 v26, v173, v26
	;; [unrolled: 1-line block ×3, first 2 shown]
	v_mul_f16_e32 v34, 0x3b76, v107
	v_add_f16_e32 v171, v24, v172
	v_fmamk_f16 v172, v65, 0xb8d2, v176
	v_mul_f16_e32 v173, 0x31e1, v90
	v_add_f16_e32 v25, v29, v25
	v_fmamk_f16 v174, v75, 0x35c8, v34
	;; [unrolled: 3-line block ×3, first 2 shown]
	v_mul_f16_e32 v171, 0x3bb2, v93
	v_add_f16_e32 v25, v30, v25
	v_add_f16_e32 v174, v174, v35
	v_fmamk_f16 v178, v78, 0x3bf7, v28
	v_add_f16_e32 v29, v29, v172
	v_fmamk_f16 v30, v68, 0xb461, v171
	v_mul_f16_e32 v35, 0x3964, v94
	v_mul_f16_e32 v179, 0x3964, v91
	v_add_f16_e32 v25, v31, v25
	v_add_f16_e32 v31, v178, v174
	;; [unrolled: 1-line block ×3, first 2 shown]
	v_fmamk_f16 v174, v72, 0x39e9, v35
	v_mul_f16_e32 v29, 0xbacd, v114
	v_add_f16_e32 v25, v32, v25
	v_mul_f16_e32 v172, 0xb5c8, v95
	v_fmamk_f16 v32, v77, 0x39e9, v179
	v_mul_f16_e32 v180, 0x39e9, v97
	v_add_f16_e32 v30, v174, v30
	v_fmamk_f16 v178, v79, 0x3836, v29
	v_add_f16_e32 v33, v33, v25
	v_fmamk_f16 v181, v73, 0x3b76, v172
	v_mul_f16_e32 v174, 0xbbf7, v96
	v_add_f16_e32 v25, v32, v26
	v_fmamk_f16 v32, v67, 0x3964, v180
	v_mul_f16_e32 v182, 0x2de8, v98
	v_add_f16_e32 v63, v63, v52
	v_add_f16_e32 v26, v178, v31
	;; [unrolled: 1-line block ×3, first 2 shown]
	v_fmamk_f16 v31, v76, 0x2de8, v174
	v_add_f16_e32 v32, v52, v32
	v_fmamk_f16 v178, v70, 0x3bf7, v182
	v_mul_f16_e32 v181, 0xb8d2, v103
	v_add_f16_e32 v62, v62, v63
	v_add_f16_e32 v17, v17, v33
	;; [unrolled: 1-line block ×4, first 2 shown]
	v_fmamk_f16 v32, v69, 0x3a62, v181
	v_mul_f16_e32 v178, 0xbbdd, v112
	v_mul_f16_e32 v63, 0xb5c8, v88
	v_add_f16_e32 v55, v55, v62
	v_add_f16_e32 v184, v18, v17
	v_add_f16_e32 v18, v32, v31
	v_fmamk_f16 v31, v71, 0x31e1, v178
	v_mul_f16_e32 v187, 0xbbf7, v89
	v_fmamk_f16 v62, v64, 0x3b76, v63
	v_mul_f16_e32 v89, 0xb964, v89
	v_add_f16_e32 v55, v61, v55
	v_add_f16_e32 v18, v31, v18
	v_mul_f16_e32 v31, 0xba62, v90
	v_add_f16_e32 v61, v24, v62
	v_fmamk_f16 v62, v65, 0x39e9, v89
	v_mul_f16_e32 v90, 0xbb29, v90
	v_add_f16_e32 v55, v59, v55
	v_fmac_f16_e32 v118, 0xb1e1, v67
	v_fmac_f16_e32 v104, 0x35c8, v70
	v_add_f16_e32 v59, v62, v61
	v_fmamk_f16 v61, v66, 0x3722, v90
	v_mul_f16_e32 v62, 0xbbf7, v93
	v_add_f16_e32 v55, v57, v55
	v_mul_f16_e32 v183, 0xb836, v91
	v_mul_f16_e32 v196, 0x3722, v103
	v_add_f16_e32 v57, v61, v59
	v_fmamk_f16 v59, v68, 0x2de8, v62
	v_mul_f16_e32 v61, 0xbbb2, v94
	v_add_f16_e32 v55, v60, v55
	v_mul_f16_e32 v60, 0xba62, v95
	v_mul_f16_e32 v103, 0x35c8, v91
	v_add_f16_e32 v57, v59, v57
	v_fmamk_f16 v59, v72, 0xb461, v61
	v_add_f16_e32 v55, v58, v55
	v_fmamk_f16 v58, v73, 0xb8d2, v60
	v_fmac_f16_e32 v105, 0xb836, v69
	v_fmac_f16_e32 v106, 0x3964, v71
	v_add_f16_e32 v57, v59, v57
	v_mul_f16_e32 v59, 0xb836, v96
	v_add_f16_e32 v54, v54, v55
	v_fmac_f16_e32 v115, 0xba62, v74
	v_add_f16_e32 v19, v19, v184
	v_add_f16_e32 v55, v58, v57
	v_fmamk_f16 v57, v76, 0xbacd, v59
	v_add_f16_e32 v58, v52, v118
	v_add_f16_e32 v54, v56, v54
	v_fma_f16 v56, v64, 0xbbdd, -v120
	v_fmac_f16_e32 v116, 0x3b29, v75
	v_add_f16_e32 v55, v57, v55
	v_mul_f16_e32 v57, 0xb1e1, v91
	v_add_f16_e32 v58, v104, v58
	v_add_f16_e32 v56, v24, v56
	v_fma_f16 v91, v65, 0x3b76, -v121
	v_add_f16_e32 v53, v53, v54
	v_fmamk_f16 v54, v77, 0xbbdd, v57
	v_add_f16_e32 v58, v105, v58
	v_add_f16_e32 v19, v20, v19
	;; [unrolled: 1-line block ×3, first 2 shown]
	v_fma_f16 v91, v66, 0xbacd, -v125
	v_add_f16_e32 v47, v47, v53
	v_add_f16_e32 v54, v54, v55
	;; [unrolled: 1-line block ×3, first 2 shown]
	v_fmac_f16_e32 v117, 0xbbb2, v78
	v_add_f16_e32 v55, v91, v56
	v_fma_f16 v56, v68, 0x39e9, -v126
	v_add_f16_e32 v46, v46, v47
	v_add_f16_e32 v47, v115, v53
	;; [unrolled: 1-line block ×3, first 2 shown]
	v_fmac_f16_e32 v109, 0xb836, v67
	v_add_f16_e32 v53, v56, v55
	v_fma_f16 v55, v72, 0xb8d2, -v128
	v_add_f16_e32 v20, v44, v46
	v_add_f16_e32 v44, v116, v47
	v_fma_f16 v47, v73, 0x3722, -v131
	v_fmac_f16_e32 v99, 0x3b29, v70
	v_add_f16_e32 v46, v55, v53
	v_add_f16_e32 v20, v43, v20
	;; [unrolled: 1-line block ×3, first 2 shown]
	v_fma_f16 v44, v76, 0xb461, -v134
	v_fmac_f16_e32 v153, 0xbbb2, v67
	v_add_f16_e32 v43, v47, v46
	v_add_f16_e32 v20, v45, v20
	v_fma_f16 v45, v64, 0xbacd, -v130
	v_add_f16_e32 v46, v52, v109
	v_fma_f16 v47, v65, 0x3722, -v132
	;; [unrolled: 2-line block ×3, first 2 shown]
	v_add_f16_e32 v45, v24, v45
	v_fmac_f16_e32 v154, 0x3836, v70
	v_fmamk_f16 v33, v77, 0xbacd, v183
	v_mul_f16_e32 v185, 0xb964, v88
	v_add_f16_e32 v43, v44, v43
	v_add_f16_e32 v44, v99, v46
	;; [unrolled: 1-line block ×3, first 2 shown]
	v_fma_f16 v46, v66, 0x2de8, -v122
	v_add_f16_e32 v47, v52, v153
	v_mul_f16_e32 v186, 0xbacd, v102
	v_fmac_f16_e32 v155, 0x3964, v69
	v_add_f16_e32 v17, v33, v30
	v_add_f16_e32 v45, v46, v45
	v_fma_f16 v46, v68, 0xb8d2, -v123
	v_add_f16_e32 v47, v154, v47
	v_fmamk_f16 v30, v64, 0x39e9, v185
	v_fmamk_f16 v32, v74, 0xb836, v186
	v_mul_f16_e32 v188, 0xb461, v107
	v_add_f16_e32 v45, v46, v45
	v_fma_f16 v46, v72, 0x3b76, -v124
	v_add_f16_e32 v47, v155, v47
	v_fmac_f16_e32 v156, 0xbb29, v71
	v_add_f16_e32 v30, v24, v30
	v_fmamk_f16 v33, v65, 0x2de8, v187
	v_add_f16_e32 v18, v32, v18
	v_fmamk_f16 v189, v75, 0xbbb2, v188
	v_mul_f16_e32 v190, 0x3722, v108
	v_add_f16_e32 v45, v46, v45
	v_fma_f16 v46, v73, 0xbbdd, -v129
	v_add_f16_e32 v47, v156, v47
	v_fmac_f16_e32 v157, 0xb1e1, v74
	v_add_f16_e32 v30, v33, v30
	v_fmamk_f16 v33, v66, 0xb8d2, v31
	v_mul_f16_e32 v32, 0xb1e1, v93
	v_add_f16_e32 v189, v189, v18
	v_fmamk_f16 v191, v78, 0xbb29, v190
	v_mul_f16_e32 v18, 0x3b76, v114
	v_add_f16_e32 v45, v46, v45
	v_fma_f16 v46, v76, 0x39e9, -v133
	v_add_f16_e32 v47, v157, v47
	v_fmac_f16_e32 v161, 0x3bf7, v75
	v_add_f16_e32 v30, v33, v30
	v_fmamk_f16 v192, v68, 0xbbdd, v32
	v_mul_f16_e32 v33, 0x3836, v94
	v_add_f16_e32 v189, v191, v189
	v_fmamk_f16 v191, v79, 0xb5c8, v18
	v_mul_f16_e32 v193, 0x3b76, v97
	v_add_f16_e32 v45, v46, v45
	v_fma_f16 v46, v77, 0xb461, -v136
	v_add_f16_e32 v47, v161, v47
	v_fmac_f16_e32 v146, 0xb5c8, v78
	v_fma_f16 v53, v64, 0xb461, -v152
	v_fmac_f16_e32 v163, 0xbbf7, v67
	v_add_f16_e32 v192, v192, v30
	v_fmamk_f16 v194, v72, 0xbacd, v33
	v_mul_f16_e32 v97, 0x3bb2, v95
	v_add_f16_e32 v30, v191, v189
	v_fmamk_f16 v189, v67, 0x35c8, v193
	v_mul_f16_e32 v191, 0x39e9, v98
	v_add_f16_e32 v45, v46, v45
	v_add_f16_e32 v46, v146, v47
	;; [unrolled: 1-line block ×3, first 2 shown]
	v_fma_f16 v53, v65, 0xbacd, -v143
	v_add_f16_e32 v55, v52, v163
	v_fmac_f16_e32 v148, 0xb1e1, v70
	v_add_f16_e32 v192, v194, v192
	v_fmamk_f16 v194, v73, 0xb461, v97
	v_mul_f16_e32 v98, 0x3b29, v96
	v_add_f16_e32 v189, v52, v189
	v_fmamk_f16 v195, v70, 0x3964, v191
	v_fma_f16 v56, v64, 0x2de8, -v164
	v_add_f16_e32 v47, v53, v47
	v_fma_f16 v53, v66, 0x39e9, -v137
	v_add_f16_e32 v55, v148, v55
	v_fmac_f16_e32 v149, 0x3bb2, v69
	v_add_f16_e32 v192, v194, v192
	v_fmamk_f16 v194, v76, 0x3722, v98
	v_add_f16_e32 v189, v195, v189
	v_fmamk_f16 v195, v69, 0x3b29, v196
	v_mul_f16_e32 v112, 0x2de8, v112
	v_add_f16_e32 v56, v24, v56
	v_fma_f16 v58, v65, 0xbbdd, -v165
	v_add_f16_e32 v47, v53, v47
	v_fma_f16 v53, v68, 0x3722, -v138
	v_add_f16_e32 v55, v149, v55
	v_fmac_f16_e32 v150, 0x35c8, v71
	v_add_f16_e32 v192, v194, v192
	v_fmamk_f16 v194, v77, 0x3b76, v103
	v_add_f16_e32 v189, v195, v189
	v_fmamk_f16 v195, v71, 0x3bf7, v112
	v_mul_f16_e32 v102, 0xb461, v102
	v_add_f16_e32 v56, v58, v56
	v_fma_f16 v58, v66, 0xb461, -v166
	v_add_f16_e32 v47, v53, v47
	v_fma_f16 v53, v72, 0xbbdd, -v139
	v_add_f16_e32 v55, v150, v55
	v_fmac_f16_e32 v151, 0xbb29, v74
	v_add_f16_e32 v88, v194, v192
	v_add_f16_e32 v189, v195, v189
	v_fmamk_f16 v192, v74, 0x3bb2, v102
	v_mul_f16_e32 v107, 0xb8d2, v107
	v_add_f16_e32 v56, v58, v56
	v_fma_f16 v58, v68, 0x3b76, -v167
	v_add_f16_e32 v47, v53, v47
	v_fma_f16 v53, v73, 0x2de8, -v140
	v_add_f16_e32 v55, v151, v55
	v_fmac_f16_e32 v160, 0xb836, v75
	v_add_f16_e32 v189, v192, v189
	v_fmamk_f16 v192, v75, 0x3a62, v107
	v_mul_f16_e32 v108, 0xbacd, v108
	v_add_f16_e32 v56, v58, v56
	v_fma_f16 v58, v72, 0x3722, -v168
	v_add_f16_e32 v47, v53, v47
	v_fma_f16 v53, v76, 0x3b76, -v141
	v_add_f16_e32 v55, v160, v55
	v_fmac_f16_e32 v162, 0x3a62, v78
	;; [unrolled: 9-line block ×3, first 2 shown]
	v_add_f16_e32 v93, v94, v93
	v_fmamk_f16 v94, v79, 0x31e1, v114
	v_add_f16_e32 v56, v58, v56
	v_fma_f16 v58, v76, 0xb8d2, -v177
	v_add_f16_e32 v47, v53, v47
	v_fmac_f16_e32 v158, 0xbb29, v67
	v_add_f16_e32 v53, v159, v55
	v_fma_f16 v55, v64, 0x3722, -v175
	v_add_f16_e32 v93, v94, v93
	v_add_f16_e32 v56, v58, v56
	v_fma_f16 v58, v77, 0x39e9, -v179
	v_add_f16_e32 v91, v52, v158
	v_fmac_f16_e32 v144, 0xba62, v70
	v_add_f16_e32 v55, v24, v55
	v_fma_f16 v94, v65, 0xb8d2, -v176
	v_fmac_f16_e32 v180, 0xb964, v67
	v_add_f16_e32 v56, v58, v56
	v_add_f16_e32 v58, v144, v91
	v_fmac_f16_e32 v145, 0x31e1, v69
	v_add_f16_e32 v55, v94, v55
	v_fma_f16 v91, v66, 0xbbdd, -v173
	v_add_f16_e32 v94, v52, v180
	v_fmac_f16_e32 v182, 0xbbf7, v70
	v_add_f16_e32 v58, v145, v58
	v_fmac_f16_e32 v170, 0x3bb2, v71
	v_add_f16_e32 v55, v91, v55
	v_fma_f16 v91, v68, 0xb461, -v171
	v_add_f16_e32 v94, v182, v94
	v_fmac_f16_e32 v181, 0xba62, v69
	;; [unrolled: 6-line block ×6, first 2 shown]
	v_fma_f16 v55, v64, 0x39e9, -v185
	v_fmac_f16_e32 v193, 0xb5c8, v67
	v_add_f16_e32 v27, v29, v27
	v_add_f16_e32 v28, v34, v28
	;; [unrolled: 1-line block ×4, first 2 shown]
	v_fma_f16 v35, v65, 0x2de8, -v187
	v_add_f16_e32 v52, v52, v193
	v_fmac_f16_e32 v191, 0xb964, v70
	v_fma_f16 v55, v64, 0x3b76, -v63
	v_fma_f16 v31, v66, 0xb8d2, -v31
	v_add_f16_e32 v34, v35, v34
	v_fmac_f16_e32 v196, 0xbb29, v69
	v_add_f16_e32 v35, v191, v52
	v_add_f16_e32 v24, v24, v55
	v_fma_f16 v52, v65, 0x39e9, -v89
	v_fmac_f16_e32 v100, 0xbbf7, v69
	v_add_f16_e32 v31, v31, v34
	v_fma_f16 v32, v68, 0xbbdd, -v32
	v_add_f16_e32 v34, v196, v35
	v_fmac_f16_e32 v112, 0xbbf7, v71
	v_add_f16_e32 v24, v52, v24
	v_fma_f16 v35, v66, 0x3722, -v90
	v_add_f16_e32 v44, v100, v44
	v_fmac_f16_e32 v101, 0x3a62, v71
	v_add_f16_e32 v31, v32, v31
	v_fma_f16 v32, v72, 0xbacd, -v33
	v_add_f16_e32 v33, v112, v34
	v_fmac_f16_e32 v102, 0xbbb2, v74
	v_add_f16_e32 v24, v35, v24
	v_fma_f16 v34, v68, 0x2de8, -v62
	v_add_f16_e32 v44, v101, v44
	v_fmac_f16_e32 v110, 0xb5c8, v74
	v_add_f16_e32 v31, v32, v31
	v_fma_f16 v32, v73, 0xb461, -v97
	v_add_f16_e32 v33, v102, v33
	v_fmac_f16_e32 v107, 0xba62, v75
	v_add_f16_e32 v24, v34, v24
	v_fma_f16 v34, v72, 0xb461, -v61
	v_add_f16_e32 v44, v110, v44
	v_fmac_f16_e32 v111, 0xb1e1, v75
	v_add_f16_e32 v31, v32, v31
	v_fma_f16 v32, v76, 0x3722, -v98
	v_add_f16_e32 v33, v107, v33
	v_fmac_f16_e32 v108, 0xb836, v78
	v_add_f16_e32 v24, v34, v24
	v_fma_f16 v34, v73, 0xb8d2, -v60
	v_fmac_f16_e32 v18, 0x35c8, v79
	v_add_f16_e32 v44, v111, v44
	v_fmac_f16_e32 v113, 0x3964, v78
	v_add_f16_e32 v31, v32, v31
	v_fma_f16 v32, v77, 0x3b76, -v103
	v_add_f16_e32 v33, v108, v33
	v_fmac_f16_e32 v114, 0xb1e1, v79
	v_add_f16_e32 v24, v34, v24
	v_fma_f16 v34, v76, 0xbacd, -v59
	v_fmac_f16_e32 v127, 0x3bf7, v79
	v_add_f16_e32 v18, v18, v29
	v_and_b32_e32 v29, 0xffff, v40
	v_add_f16_e32 v44, v113, v44
	v_fmac_f16_e32 v119, 0xbbb2, v79
	v_fmac_f16_e32 v147, 0xba62, v79
	v_add_f16_e32 v31, v32, v31
	v_add_f16_e32 v32, v114, v33
	;; [unrolled: 1-line block ×3, first 2 shown]
	v_fma_f16 v33, v77, 0xbbdd, -v57
	v_add_f16_e32 v42, v127, v42
	v_lshl_add_u32 v29, v29, 2, v39
	v_pack_b32_f16 v34, v54, v93
	v_pack_b32_f16 v19, v19, v20
	v_add_f16_e32 v44, v119, v44
	v_pack_b32_f16 v17, v17, v26
	v_pack_b32_f16 v20, v88, v30
	v_add_f16_e32 v46, v147, v46
	v_pack_b32_f16 v26, v87, v86
	v_pack_b32_f16 v25, v25, v92
	;; [unrolled: 1-line block ×4, first 2 shown]
	v_add_f16_e32 v24, v33, v24
	ds_write2_b32 v29, v19, v34 offset1:1
	ds_write2_b32 v29, v20, v17 offset0:2 offset1:3
	ds_write2_b32 v29, v25, v26 offset0:4 offset1:5
	ds_write2_b32 v29, v30, v35 offset0:6 offset1:7
	v_pack_b32_f16 v17, v43, v42
	v_pack_b32_f16 v19, v81, v80
	;; [unrolled: 1-line block ×3, first 2 shown]
	v_perm_b32 v25, v51, v23, 0x5040100
	v_pack_b32_f16 v26, v56, v53
	v_pack_b32_f16 v30, v47, v46
	;; [unrolled: 1-line block ×5, first 2 shown]
	ds_write2_b32 v29, v19, v17 offset0:8 offset1:9
	ds_write2_b32 v29, v20, v25 offset0:10 offset1:11
	;; [unrolled: 1-line block ×4, first 2 shown]
	ds_write_b32 v29, v24 offset:64
.LBB0_17:
	s_or_b32 exec_lo, exec_lo, s1
	v_add_nc_u32_e32 v19, 0x200, v41
	s_waitcnt lgkmcnt(0)
	s_barrier
	buffer_gl0_inv
	ds_read2_b32 v[17:18], v41 offset1:102
	ds_read2_b32 v[19:20], v19 offset0:76 offset1:178
	v_add_nc_u32_e32 v24, 0x400, v41
	v_add_nc_u32_e32 v26, 0x800, v41
	;; [unrolled: 1-line block ×3, first 2 shown]
	ds_read_b32 v30, v41 offset:4080
	ds_read2_b32 v[24:25], v24 offset0:152 offset1:254
	ds_read2_b32 v[26:27], v26 offset0:100 offset1:202
	;; [unrolled: 1-line block ×3, first 2 shown]
	s_waitcnt lgkmcnt(0)
	s_barrier
	buffer_gl0_inv
	v_lshrrev_b32_e32 v31, 16, v18
	v_mul_f16_sdwa v33, v4, v18 dst_sel:DWORD dst_unused:UNUSED_PAD src0_sel:WORD_1 src1_sel:DWORD
	v_lshrrev_b32_e32 v34, 16, v19
	v_lshrrev_b32_e32 v35, 16, v20
	v_mul_f16_sdwa v47, v6, v20 dst_sel:DWORD dst_unused:UNUSED_PAD src0_sel:WORD_1 src1_sel:DWORD
	v_lshrrev_b32_e32 v40, 16, v25
	v_mul_f16_sdwa v46, v4, v31 dst_sel:DWORD dst_unused:UNUSED_PAD src0_sel:WORD_1 src1_sel:DWORD
	v_fma_f16 v31, v4, v31, -v33
	v_mul_f16_sdwa v33, v5, v19 dst_sel:DWORD dst_unused:UNUSED_PAD src0_sel:WORD_1 src1_sel:DWORD
	v_mul_f16_sdwa v53, v5, v34 dst_sel:DWORD dst_unused:UNUSED_PAD src0_sel:WORD_1 src1_sel:DWORD
	;; [unrolled: 1-line block ×3, first 2 shown]
	v_lshrrev_b32_e32 v39, 16, v24
	v_fmac_f16_e32 v46, v4, v18
	v_fma_f16 v18, v5, v34, -v33
	v_fmac_f16_e32 v53, v5, v19
	v_fmac_f16_e32 v54, v6, v20
	v_fma_f16 v5, v6, v35, -v47
	v_mul_f16_sdwa v6, v0, v40 dst_sel:DWORD dst_unused:UNUSED_PAD src0_sel:WORD_1 src1_sel:DWORD
	v_lshrrev_b32_e32 v42, 16, v26
	v_mul_f16_sdwa v4, v7, v39 dst_sel:DWORD dst_unused:UNUSED_PAD src0_sel:WORD_1 src1_sel:DWORD
	v_mul_f16_sdwa v20, v0, v25 dst_sel:DWORD dst_unused:UNUSED_PAD src0_sel:WORD_1 src1_sel:DWORD
	;; [unrolled: 1-line block ×3, first 2 shown]
	v_fmac_f16_e32 v6, v0, v25
	v_add_f16_sdwa v25, v17, v31 dst_sel:DWORD dst_unused:UNUSED_PAD src0_sel:WORD_1 src1_sel:DWORD
	v_fmac_f16_e32 v4, v7, v24
	v_add_f16_e32 v19, v17, v46
	v_mul_f16_sdwa v24, v1, v42 dst_sel:DWORD dst_unused:UNUSED_PAD src0_sel:WORD_1 src1_sel:DWORD
	v_fma_f16 v0, v0, v40, -v20
	v_mul_f16_sdwa v20, v1, v26 dst_sel:DWORD dst_unused:UNUSED_PAD src0_sel:WORD_1 src1_sel:DWORD
	v_add_f16_e32 v25, v25, v18
	v_lshrrev_b32_e32 v43, 16, v27
	v_fma_f16 v7, v7, v39, -v52
	v_add_f16_e32 v19, v19, v53
	v_fmac_f16_e32 v24, v1, v26
	v_fma_f16 v1, v1, v42, -v20
	v_add_f16_e32 v20, v25, v5
	v_lshrrev_b32_e32 v44, 16, v28
	v_add_f16_e32 v19, v19, v54
	v_mul_f16_sdwa v26, v2, v43 dst_sel:DWORD dst_unused:UNUSED_PAD src0_sel:WORD_1 src1_sel:DWORD
	v_lshrrev_b32_e32 v45, 16, v29
	v_add_f16_e32 v20, v20, v7
	v_mul_f16_sdwa v33, v2, v27 dst_sel:DWORD dst_unused:UNUSED_PAD src0_sel:WORD_1 src1_sel:DWORD
	v_add_f16_e32 v19, v19, v4
	v_fmac_f16_e32 v26, v2, v27
	v_mul_f16_sdwa v25, v3, v44 dst_sel:DWORD dst_unused:UNUSED_PAD src0_sel:WORD_1 src1_sel:DWORD
	v_mul_f16_sdwa v27, v3, v28 dst_sel:DWORD dst_unused:UNUSED_PAD src0_sel:WORD_1 src1_sel:DWORD
	v_add_f16_e32 v20, v20, v0
	v_lshrrev_b32_e32 v32, 16, v30
	v_fma_f16 v2, v2, v43, -v33
	v_add_f16_e32 v19, v19, v6
	v_mul_f16_sdwa v33, v21, v45 dst_sel:DWORD dst_unused:UNUSED_PAD src0_sel:WORD_1 src1_sel:DWORD
	v_fmac_f16_e32 v25, v3, v28
	v_fma_f16 v3, v3, v44, -v27
	v_mul_f16_sdwa v27, v22, v30 dst_sel:DWORD dst_unused:UNUSED_PAD src0_sel:WORD_1 src1_sel:DWORD
	v_add_f16_e32 v20, v20, v1
	v_add_f16_e32 v19, v19, v24
	v_fmac_f16_e32 v33, v21, v29
	v_mul_f16_sdwa v28, v21, v29 dst_sel:DWORD dst_unused:UNUSED_PAD src0_sel:WORD_1 src1_sel:DWORD
	v_mul_f16_sdwa v29, v22, v32 dst_sel:DWORD dst_unused:UNUSED_PAD src0_sel:WORD_1 src1_sel:DWORD
	v_fma_f16 v27, v22, v32, -v27
	v_add_f16_e32 v20, v20, v2
	v_add_f16_e32 v19, v19, v26
	v_fma_f16 v21, v21, v45, -v28
	v_fmac_f16_e32 v29, v22, v30
	v_sub_f16_e32 v22, v31, v27
	v_add_f16_e32 v20, v20, v3
	v_add_f16_e32 v19, v19, v25
	;; [unrolled: 1-line block ×4, first 2 shown]
	v_mul_f16_e32 v31, 0xb853, v22
	v_add_f16_e32 v20, v20, v21
	v_sub_f16_e32 v58, v18, v21
	v_add_f16_e32 v19, v19, v33
	v_sub_f16_e32 v32, v46, v29
	v_mul_f16_e32 v34, 0x3abb, v28
	v_fmamk_f16 v35, v30, 0x3abb, v31
	v_add_f16_e32 v27, v20, v27
	v_mul_f16_e32 v20, 0xbb47, v22
	v_mul_f16_e32 v40, 0x36a6, v28
	;; [unrolled: 1-line block ×8, first 2 shown]
	v_add_f16_e32 v60, v53, v33
	v_mul_f16_e32 v61, 0xbb47, v58
	v_add_f16_e32 v18, v18, v21
	v_add_f16_e32 v29, v19, v29
	v_fmamk_f16 v19, v32, 0x3853, v34
	v_add_f16_e32 v35, v17, v35
	v_fma_f16 v31, v30, 0x3abb, -v31
	v_fmac_f16_e32 v34, 0xb853, v32
	v_fmamk_f16 v39, v30, 0x36a6, v20
	v_fmamk_f16 v43, v32, 0x3b47, v40
	v_fma_f16 v20, v30, 0x36a6, -v20
	v_fmac_f16_e32 v40, 0xbb47, v32
	v_fmamk_f16 v44, v30, 0xb08e, v42
	v_fmamk_f16 v46, v32, 0x3beb, v45
	;; [unrolled: 4-line block ×4, first 2 shown]
	v_fma_f16 v21, v30, 0xbbad, -v22
	v_fmac_f16_e32 v28, 0xb482, v32
	v_sub_f16_e32 v22, v53, v33
	v_fmamk_f16 v30, v60, 0x36a6, v61
	v_mul_f16_e32 v32, 0x36a6, v18
	v_add_f16_sdwa v19, v17, v19 dst_sel:DWORD dst_unused:UNUSED_PAD src0_sel:WORD_1 src1_sel:DWORD
	v_add_f16_e32 v31, v17, v31
	v_add_f16_sdwa v34, v17, v34 dst_sel:DWORD dst_unused:UNUSED_PAD src0_sel:WORD_1 src1_sel:DWORD
	v_add_f16_e32 v39, v17, v39
	;; [unrolled: 2-line block ×10, first 2 shown]
	v_fmamk_f16 v30, v22, 0x3b47, v32
	v_mul_f16_e32 v35, 0xba0c, v58
	v_fma_f16 v53, v60, 0x36a6, -v61
	v_fmac_f16_e32 v32, 0xbb47, v22
	v_mul_f16_e32 v59, 0xb93d, v18
	v_add_f16_e32 v19, v30, v19
	v_fmamk_f16 v30, v60, 0xb93d, v35
	v_add_f16_e32 v31, v53, v31
	v_add_f16_e32 v32, v32, v34
	v_fmamk_f16 v34, v22, 0x3a0c, v59
	v_mul_f16_e32 v53, 0x3482, v58
	v_add_f16_e32 v30, v30, v39
	v_fma_f16 v35, v60, 0xb93d, -v35
	v_fmac_f16_e32 v59, 0xba0c, v22
	v_add_f16_e32 v34, v34, v43
	v_fmamk_f16 v39, v60, 0xbbad, v53
	v_mul_f16_e32 v43, 0xbbad, v18
	v_add_f16_e32 v20, v35, v20
	v_add_f16_e32 v35, v59, v40
	v_mul_f16_e32 v40, 0x3beb, v58
	v_add_f16_e32 v39, v39, v44
	v_fmamk_f16 v44, v22, 0xb482, v43
	v_mul_f16_e32 v61, 0xb08e, v18
	v_fma_f16 v53, v60, 0xbbad, -v53
	v_fmamk_f16 v59, v60, 0xb08e, v40
	v_mul_f16_e32 v18, 0x3abb, v18
	v_add_f16_e32 v44, v44, v46
	v_fmamk_f16 v46, v22, 0xbbeb, v61
	v_fma_f16 v40, v60, 0xb08e, -v40
	v_fmac_f16_e32 v61, 0x3beb, v22
	v_fmac_f16_e32 v43, 0x3482, v22
	v_add_f16_e32 v42, v53, v42
	v_mul_f16_e32 v53, 0x3853, v58
	v_add_f16_e32 v46, v46, v56
	v_fmamk_f16 v56, v22, 0xb853, v18
	v_add_f16_e32 v40, v40, v47
	v_add_f16_e32 v47, v61, v52
	v_sub_f16_e32 v52, v5, v3
	v_add_f16_e32 v3, v5, v3
	v_add_f16_e32 v43, v43, v45
	;; [unrolled: 1-line block ×3, first 2 shown]
	v_fmamk_f16 v55, v60, 0x3abb, v53
	v_add_f16_e32 v33, v56, v33
	v_add_f16_e32 v56, v54, v25
	v_mul_f16_e32 v5, 0xbbeb, v52
	v_fma_f16 v53, v60, 0x3abb, -v53
	v_fmac_f16_e32 v18, 0x3853, v22
	v_sub_f16_e32 v22, v54, v25
	v_mul_f16_e32 v25, 0xb08e, v3
	v_fmamk_f16 v54, v56, 0xb08e, v5
	v_add_f16_e32 v21, v53, v21
	v_add_f16_e32 v17, v18, v17
	v_mul_f16_e32 v18, 0x3482, v52
	v_fmamk_f16 v53, v22, 0x3beb, v25
	v_add_f16_e32 v28, v54, v28
	v_fma_f16 v5, v56, 0xb08e, -v5
	v_fmac_f16_e32 v25, 0xbbeb, v22
	v_fmamk_f16 v54, v56, 0xbbad, v18
	v_add_f16_e32 v19, v53, v19
	v_mul_f16_e32 v53, 0xbbad, v3
	v_add_f16_e32 v5, v5, v31
	v_add_f16_e32 v25, v25, v32
	;; [unrolled: 1-line block ×3, first 2 shown]
	v_mul_f16_e32 v31, 0x3b47, v52
	v_fmamk_f16 v32, v22, 0xb482, v53
	v_mul_f16_e32 v54, 0x36a6, v3
	v_add_f16_e32 v55, v55, v57
	v_fma_f16 v18, v56, 0xbbad, -v18
	v_fmac_f16_e32 v53, 0x3482, v22
	v_fmamk_f16 v57, v56, 0x36a6, v31
	v_add_f16_e32 v32, v32, v34
	v_fmamk_f16 v34, v22, 0xbb47, v54
	v_add_f16_e32 v18, v18, v20
	v_add_f16_e32 v20, v53, v35
	;; [unrolled: 1-line block ×3, first 2 shown]
	v_mul_f16_e32 v39, 0xb853, v52
	v_fma_f16 v31, v56, 0x36a6, -v31
	v_fmac_f16_e32 v54, 0x3b47, v22
	v_add_f16_e32 v34, v34, v44
	v_mul_f16_e32 v44, 0x3abb, v3
	v_fmamk_f16 v53, v56, 0x3abb, v39
	v_add_f16_e32 v31, v31, v42
	v_add_f16_e32 v42, v54, v43
	v_mul_f16_e32 v43, 0xba0c, v52
	v_fmamk_f16 v52, v22, 0x3853, v44
	v_fma_f16 v39, v56, 0x3abb, -v39
	v_fmac_f16_e32 v44, 0xb853, v22
	v_add_f16_e32 v45, v53, v45
	v_fmamk_f16 v53, v56, 0xb93d, v43
	v_mul_f16_e32 v3, 0xb93d, v3
	v_add_f16_e32 v39, v39, v40
	v_add_f16_e32 v40, v44, v47
	v_sub_f16_e32 v47, v7, v2
	v_add_f16_e32 v2, v7, v2
	v_add_f16_e32 v46, v52, v46
	;; [unrolled: 1-line block ×3, first 2 shown]
	v_fmamk_f16 v52, v22, 0x3a0c, v3
	v_fma_f16 v43, v56, 0xb93d, -v43
	v_add_f16_e32 v7, v4, v26
	v_mul_f16_e32 v53, 0xba0c, v47
	v_fmac_f16_e32 v3, 0xba0c, v22
	v_sub_f16_e32 v4, v4, v26
	v_mul_f16_e32 v22, 0xb93d, v2
	v_add_f16_e32 v26, v52, v33
	v_fmamk_f16 v33, v7, 0xb93d, v53
	v_add_f16_e32 v21, v43, v21
	v_add_f16_e32 v3, v3, v17
	v_fmamk_f16 v17, v4, 0x3a0c, v22
	v_mul_f16_e32 v43, 0x3beb, v47
	v_fmac_f16_e32 v22, 0xba0c, v4
	v_add_f16_e32 v28, v33, v28
	v_fma_f16 v33, v7, 0xb93d, -v53
	v_add_f16_e32 v17, v17, v19
	v_fmamk_f16 v19, v7, 0xb08e, v43
	v_mul_f16_e32 v52, 0xb08e, v2
	v_add_f16_e32 v25, v22, v25
	v_mul_f16_e32 v22, 0xb853, v47
	v_add_f16_e32 v5, v33, v5
	v_add_f16_e32 v30, v19, v30
	v_fmamk_f16 v19, v4, 0xbbeb, v52
	v_fma_f16 v33, v7, 0xb08e, -v43
	v_fmamk_f16 v43, v7, 0x3abb, v22
	v_mul_f16_e32 v53, 0x3abb, v2
	v_fma_f16 v22, v7, 0x3abb, -v22
	v_add_f16_e32 v32, v19, v32
	v_add_f16_e32 v18, v33, v18
	;; [unrolled: 1-line block ×3, first 2 shown]
	v_fmamk_f16 v19, v4, 0x3853, v53
	v_mul_f16_e32 v35, 0xb482, v47
	v_mul_f16_e32 v43, 0xbbad, v2
	v_add_f16_e32 v31, v22, v31
	v_mul_f16_e32 v47, 0x3b47, v47
	v_add_f16_e32 v34, v19, v34
	v_fmamk_f16 v19, v7, 0xbbad, v35
	v_fmamk_f16 v22, v4, 0x3482, v43
	v_fmac_f16_e32 v43, 0xb482, v4
	v_mul_f16_e32 v2, 0x36a6, v2
	v_fmac_f16_e32 v52, 0x3beb, v4
	v_add_f16_e32 v45, v19, v45
	v_fma_f16 v19, v7, 0xbbad, -v35
	v_add_f16_e32 v40, v43, v40
	v_sub_f16_e32 v43, v0, v1
	v_add_f16_e32 v0, v0, v1
	v_fmac_f16_e32 v53, 0xb853, v4
	v_add_f16_e32 v35, v22, v46
	v_fmamk_f16 v22, v7, 0x36a6, v47
	v_add_f16_e32 v39, v19, v39
	v_fmamk_f16 v19, v4, 0xbb47, v2
	v_add_f16_e32 v46, v6, v24
	v_mul_f16_e32 v1, 0xb482, v43
	v_fma_f16 v7, v7, 0x36a6, -v47
	v_fmac_f16_e32 v2, 0x3b47, v4
	v_sub_f16_e32 v4, v6, v24
	v_mul_f16_e32 v6, 0xbbad, v0
	v_add_f16_e32 v44, v22, v44
	v_fmamk_f16 v22, v46, 0xbbad, v1
	v_add_f16_e32 v7, v7, v21
	v_add_f16_e32 v21, v2, v3
	v_fmamk_f16 v2, v4, 0x3482, v6
	v_mul_f16_e32 v3, 0x3853, v43
	v_fma_f16 v1, v46, 0xbbad, -v1
	v_add_f16_e32 v28, v22, v28
	v_fmac_f16_e32 v6, 0xb482, v4
	v_add_f16_e32 v17, v2, v17
	v_mul_f16_e32 v2, 0x3abb, v0
	v_fmamk_f16 v24, v46, 0x3abb, v3
	v_add_f16_e32 v22, v1, v5
	v_mul_f16_e32 v1, 0xba0c, v43
	v_add_f16_e32 v20, v52, v20
	v_add_f16_e32 v26, v19, v26
	;; [unrolled: 1-line block ×3, first 2 shown]
	v_fmamk_f16 v5, v4, 0xb853, v2
	v_add_f16_e32 v6, v24, v30
	v_fma_f16 v3, v46, 0x3abb, -v3
	v_fmac_f16_e32 v2, 0x3853, v4
	v_fmamk_f16 v24, v46, 0xb93d, v1
	v_mul_f16_e32 v25, 0xb93d, v0
	v_mul_f16_e32 v30, 0x3b47, v43
	v_add_f16_e32 v42, v53, v42
	v_add_f16_e32 v5, v5, v32
	;; [unrolled: 1-line block ×5, first 2 shown]
	v_fmamk_f16 v2, v4, 0x3a0c, v25
	v_fma_f16 v1, v46, 0xb93d, -v1
	v_fmac_f16_e32 v25, 0xba0c, v4
	v_mul_f16_e32 v32, 0x36a6, v0
	v_fmamk_f16 v33, v46, 0x36a6, v30
	v_add_f16_e32 v34, v2, v34
	v_add_f16_e32 v2, v1, v31
	;; [unrolled: 1-line block ×3, first 2 shown]
	v_fmamk_f16 v1, v4, 0xbb47, v32
	v_add_f16_e32 v31, v33, v45
	v_mul_f16_e32 v25, 0xbbeb, v43
	v_fma_f16 v30, v46, 0x36a6, -v30
	v_mul_f16_e32 v33, 0xb08e, v0
	v_add_f16_e32 v35, v1, v35
	v_fmac_f16_e32 v32, 0x3b47, v4
	v_fmamk_f16 v0, v46, 0xb08e, v25
	v_add_f16_e32 v1, v30, v39
	v_fmamk_f16 v30, v4, 0x3beb, v33
	v_fma_f16 v39, v46, 0xb08e, -v25
	v_fmac_f16_e32 v33, 0xbbeb, v4
	v_add_f16_e32 v25, v32, v40
	v_add_f16_e32 v32, v0, v44
	;; [unrolled: 1-line block ×4, first 2 shown]
	v_pack_b32_f16 v7, v29, v27
	v_pack_b32_f16 v17, v28, v17
	v_add_f16_e32 v21, v33, v21
	v_pack_b32_f16 v5, v6, v5
	v_pack_b32_f16 v6, v18, v34
	;; [unrolled: 1-line block ×3, first 2 shown]
	ds_write2_b32 v48, v7, v17 offset1:17
	v_pack_b32_f16 v7, v31, v35
	v_pack_b32_f16 v17, v0, v21
	;; [unrolled: 1-line block ×6, first 2 shown]
	ds_write2_b32 v48, v5, v6 offset0:34 offset1:51
	ds_write2_b32 v48, v7, v4 offset0:68 offset1:85
	;; [unrolled: 1-line block ×4, first 2 shown]
	ds_write_b32 v48, v28 offset:680
	v_add_nc_u32_e32 v6, 0x500, v41
	v_add_nc_u32_e32 v7, 0xb00, v41
	s_waitcnt lgkmcnt(0)
	s_barrier
	buffer_gl0_inv
	ds_read2_b32 v[4:5], v41 offset1:187
	ds_read2_b32 v[17:18], v6 offset0:54 offset1:241
	ds_read2_b32 v[6:7], v7 offset0:44 offset1:231
	s_and_saveexec_b32 s1, s0
	s_cbranch_execz .LBB0_19
; %bb.18:
	v_add_nc_u32_e32 v0, 0x100, v41
	v_add_nc_u32_e32 v2, 0x700, v41
	;; [unrolled: 1-line block ×3, first 2 shown]
	ds_read2_b32 v[0:1], v0 offset0:38 offset1:225
	ds_read2_b32 v[2:3], v2 offset0:28 offset1:215
	;; [unrolled: 1-line block ×3, first 2 shown]
	s_waitcnt lgkmcnt(2)
	v_lshrrev_b32_e32 v21, 16, v0
	v_lshrrev_b32_e32 v25, 16, v1
	s_waitcnt lgkmcnt(1)
	v_lshrrev_b32_e32 v24, 16, v2
	v_lshrrev_b32_e32 v20, 16, v3
	;; [unrolled: 3-line block ×3, first 2 shown]
.LBB0_19:
	s_or_b32 exec_lo, exec_lo, s1
	s_waitcnt lgkmcnt(2)
	v_lshrrev_b32_e32 v26, 16, v5
	s_waitcnt lgkmcnt(1)
	v_lshrrev_b32_e32 v28, 16, v17
	v_lshrrev_b32_e32 v29, 16, v18
	s_waitcnt lgkmcnt(0)
	v_lshrrev_b32_e32 v30, 16, v6
	v_mul_f16_sdwa v32, v12, v5 dst_sel:DWORD dst_unused:UNUSED_PAD src0_sel:WORD_1 src1_sel:DWORD
	v_mul_f16_sdwa v31, v12, v26 dst_sel:DWORD dst_unused:UNUSED_PAD src0_sel:WORD_1 src1_sel:DWORD
	v_mul_f16_sdwa v34, v13, v28 dst_sel:DWORD dst_unused:UNUSED_PAD src0_sel:WORD_1 src1_sel:DWORD
	v_mul_f16_sdwa v35, v13, v17 dst_sel:DWORD dst_unused:UNUSED_PAD src0_sel:WORD_1 src1_sel:DWORD
	v_lshrrev_b32_e32 v33, 16, v7
	v_lshrrev_b32_e32 v27, 16, v4
	v_fmac_f16_e32 v31, v12, v5
	v_fma_f16 v5, v12, v26, -v32
	v_mul_f16_sdwa v12, v14, v29 dst_sel:DWORD dst_unused:UNUSED_PAD src0_sel:WORD_1 src1_sel:DWORD
	v_fmac_f16_e32 v34, v13, v17
	v_mul_f16_sdwa v17, v15, v30 dst_sel:DWORD dst_unused:UNUSED_PAD src0_sel:WORD_1 src1_sel:DWORD
	v_mul_f16_sdwa v26, v14, v18 dst_sel:DWORD dst_unused:UNUSED_PAD src0_sel:WORD_1 src1_sel:DWORD
	v_fma_f16 v13, v13, v28, -v35
	v_fmac_f16_e32 v12, v14, v18
	v_mul_f16_sdwa v18, v15, v6 dst_sel:DWORD dst_unused:UNUSED_PAD src0_sel:WORD_1 src1_sel:DWORD
	v_fmac_f16_e32 v17, v15, v6
	v_mul_f16_sdwa v6, v50, v33 dst_sel:DWORD dst_unused:UNUSED_PAD src0_sel:WORD_1 src1_sel:DWORD
	v_fma_f16 v14, v14, v29, -v26
	v_mul_f16_sdwa v26, v50, v7 dst_sel:DWORD dst_unused:UNUSED_PAD src0_sel:WORD_1 src1_sel:DWORD
	v_fma_f16 v15, v15, v30, -v18
	v_add_f16_e32 v18, v34, v17
	v_fmac_f16_e32 v6, v50, v7
	v_add_f16_e32 v7, v4, v34
	v_fma_f16 v26, v50, v33, -v26
	v_add_f16_e32 v28, v13, v15
	v_fmac_f16_e32 v4, -0.5, v18
	v_sub_f16_e32 v18, v13, v15
	v_add_f16_e32 v13, v27, v13
	v_add_f16_e32 v7, v7, v17
	v_fmac_f16_e32 v27, -0.5, v28
	v_sub_f16_e32 v17, v34, v17
	v_fmamk_f16 v28, v18, 0xbaee, v4
	v_fmac_f16_e32 v4, 0x3aee, v18
	v_add_f16_e32 v18, v14, v26
	v_add_f16_e32 v29, v12, v6
	;; [unrolled: 1-line block ×4, first 2 shown]
	v_fmamk_f16 v15, v17, 0x3aee, v27
	v_fmac_f16_e32 v5, -0.5, v18
	v_sub_f16_e32 v18, v12, v6
	v_add_f16_e32 v12, v31, v12
	v_fmac_f16_e32 v31, -0.5, v29
	v_sub_f16_e32 v14, v14, v26
	v_fmac_f16_e32 v27, 0xbaee, v17
	v_fmamk_f16 v17, v18, 0x3aee, v5
	v_fmac_f16_e32 v5, 0xbaee, v18
	v_add_f16_e32 v6, v12, v6
	v_fmamk_f16 v12, v14, 0xbaee, v31
	v_fmac_f16_e32 v31, 0x3aee, v14
	v_mul_f16_e32 v14, 0xbaee, v17
	v_mul_f16_e32 v17, 0.5, v17
	v_mul_f16_e32 v18, 0xbaee, v5
	v_mul_f16_e32 v5, -0.5, v5
	v_add_f16_e32 v26, v30, v26
	v_fmac_f16_e32 v14, 0.5, v12
	v_fmac_f16_e32 v17, 0x3aee, v12
	v_fmac_f16_e32 v18, -0.5, v31
	v_fmac_f16_e32 v5, 0x3aee, v31
	v_add_f16_e32 v29, v7, v6
	v_add_f16_e32 v12, v28, v14
	;; [unrolled: 1-line block ×6, first 2 shown]
	v_sub_f16_e32 v6, v7, v6
	v_sub_f16_e32 v13, v13, v26
	;; [unrolled: 1-line block ×6, first 2 shown]
	v_pack_b32_f16 v15, v29, v31
	v_pack_b32_f16 v12, v12, v32
	;; [unrolled: 1-line block ×4, first 2 shown]
	v_add_nc_u32_e32 v13, 0x500, v38
	v_pack_b32_f16 v7, v7, v14
	v_pack_b32_f16 v4, v4, v5
	v_add_nc_u32_e32 v5, 0xb00, v38
	ds_write2_b32 v38, v15, v12 offset1:187
	ds_write2_b32 v13, v17, v6 offset0:54 offset1:241
	ds_write2_b32 v5, v7, v4 offset0:44 offset1:231
	s_and_saveexec_b32 s1, s0
	s_cbranch_execz .LBB0_21
; %bb.20:
	v_mul_f16_sdwa v7, v10, v3 dst_sel:DWORD dst_unused:UNUSED_PAD src0_sel:WORD_1 src1_sel:DWORD
	v_mul_f16_sdwa v12, v49, v23 dst_sel:DWORD dst_unused:UNUSED_PAD src0_sel:WORD_1 src1_sel:DWORD
	;; [unrolled: 1-line block ×7, first 2 shown]
	v_fma_f16 v7, v10, v20, -v7
	v_fma_f16 v12, v49, v51, -v12
	v_fma_f16 v4, v9, v24, -v4
	v_fma_f16 v5, v11, v19, -v5
	v_mul_f16_sdwa v17, v8, v25 dst_sel:DWORD dst_unused:UNUSED_PAD src0_sel:WORD_1 src1_sel:DWORD
	v_fmac_f16_e32 v6, v10, v3
	v_fmac_f16_e32 v13, v49, v23
	v_fma_f16 v3, v8, v25, -v14
	v_add_f16_e32 v10, v7, v12
	v_mul_f16_sdwa v14, v9, v24 dst_sel:DWORD dst_unused:UNUSED_PAD src0_sel:WORD_1 src1_sel:DWORD
	v_mul_f16_sdwa v18, v11, v19 dst_sel:DWORD dst_unused:UNUSED_PAD src0_sel:WORD_1 src1_sel:DWORD
	v_add_f16_e32 v15, v5, v4
	v_fmac_f16_e32 v17, v8, v1
	v_add_f16_e32 v1, v6, v13
	v_fma_f16 v8, -0.5, v10, v3
	v_sub_f16_e32 v10, v6, v13
	v_fmac_f16_e32 v14, v9, v2
	v_fmac_f16_e32 v18, v11, v22
	v_fma_f16 v1, -0.5, v1, v17
	v_sub_f16_e32 v2, v7, v12
	v_fmamk_f16 v9, v10, 0xbaee, v8
	v_fma_f16 v11, -0.5, v15, v21
	v_sub_f16_e32 v15, v14, v18
	v_fmac_f16_e32 v8, 0x3aee, v10
	v_add_f16_e32 v23, v18, v14
	v_fmamk_f16 v19, v2, 0x3aee, v1
	v_fmac_f16_e32 v1, 0xbaee, v2
	v_fmamk_f16 v10, v15, 0xbaee, v11
	v_mul_f16_e32 v2, 0.5, v8
	v_fmac_f16_e32 v11, 0x3aee, v15
	v_add_f16_e32 v15, v4, v21
	v_add_f16_e32 v3, v7, v3
	v_fma_f16 v7, -0.5, v23, v0
	v_sub_f16_e32 v4, v4, v5
	v_mul_f16_e32 v8, 0xbaee, v8
	v_add_f16_e32 v0, v14, v0
	v_add_f16_e32 v6, v6, v17
	v_mul_f16_e32 v20, -0.5, v9
	v_mul_f16_e32 v9, 0xbaee, v9
	v_fmac_f16_e32 v2, 0x3aee, v1
	v_add_f16_e32 v5, v5, v15
	v_add_f16_e32 v3, v12, v3
	v_fmamk_f16 v12, v4, 0x3aee, v7
	v_fmac_f16_e32 v7, 0xbaee, v4
	v_fmac_f16_e32 v8, 0.5, v1
	v_add_f16_e32 v0, v18, v0
	v_add_f16_e32 v4, v13, v6
	v_fmac_f16_e32 v20, 0x3aee, v19
	v_fmac_f16_e32 v9, -0.5, v19
	v_sub_f16_e32 v21, v11, v2
	v_sub_f16_e32 v1, v5, v3
	;; [unrolled: 1-line block ×3, first 2 shown]
	v_add_f16_e32 v2, v11, v2
	v_add_f16_e32 v3, v5, v3
	;; [unrolled: 1-line block ×4, first 2 shown]
	v_sub_f16_e32 v6, v12, v9
	v_add_f16_e32 v8, v10, v20
	v_add_f16_e32 v9, v12, v9
	v_sub_f16_e32 v0, v0, v4
	v_sub_f16_e32 v22, v10, v20
	v_pack_b32_f16 v3, v5, v3
	v_pack_b32_f16 v2, v7, v2
	v_add_nc_u32_e32 v4, 0x100, v38
	v_pack_b32_f16 v5, v9, v8
	v_pack_b32_f16 v0, v0, v1
	v_add_nc_u32_e32 v1, 0x700, v38
	;; [unrolled: 3-line block ×3, first 2 shown]
	ds_write2_b32 v4, v3, v2 offset0:38 offset1:225
	ds_write2_b32 v1, v5, v0 offset0:28 offset1:215
	;; [unrolled: 1-line block ×3, first 2 shown]
.LBB0_21:
	s_or_b32 exec_lo, exec_lo, s1
	s_waitcnt lgkmcnt(0)
	s_barrier
	buffer_gl0_inv
	s_and_b32 exec_lo, exec_lo, vcc_lo
	s_cbranch_execz .LBB0_23
; %bb.22:
	global_load_dword v0, v36, s[8:9]
	ds_read_b32 v1, v38
	s_mov_b32 s12, 0x4bc01d34
	s_mov_b32 s13, 0x3f4d347a
	v_mad_u64_u32 v[6:7], null, s4, v37, 0
	s_mul_hi_u32 s3, s4, 0x108
	s_mulk_i32 s4, 0x108
	s_waitcnt lgkmcnt(0)
	v_lshrrev_b32_e32 v2, 16, v1
	s_waitcnt vmcnt(0)
	v_mul_f16_sdwa v3, v2, v0 dst_sel:DWORD dst_unused:UNUSED_PAD src0_sel:DWORD src1_sel:WORD_1
	v_mul_f16_sdwa v4, v1, v0 dst_sel:DWORD dst_unused:UNUSED_PAD src0_sel:DWORD src1_sel:WORD_1
	v_fmac_f16_e32 v3, v1, v0
	v_fma_f16 v0, v0, v2, -v4
	v_mad_u64_u32 v[4:5], null, s6, v16, 0
	v_cvt_f32_f16_e32 v1, v3
	v_cvt_f32_f16_e32 v2, v0
	v_cvt_f64_f32_e32 v[0:1], v1
	v_cvt_f64_f32_e32 v[2:3], v2
	v_mul_f64 v[0:1], v[0:1], s[12:13]
	v_mul_f64 v[2:3], v[2:3], s[12:13]
	v_and_or_b32 v0, 0x1ff, v1, v0
	v_and_or_b32 v2, 0x1ff, v3, v2
	v_lshrrev_b32_e32 v8, 8, v1
	v_bfe_u32 v10, v1, 20, 11
	v_lshrrev_b32_e32 v9, 8, v3
	v_cmp_ne_u32_e32 vcc_lo, 0, v0
	v_bfe_u32 v11, v3, 20, 11
	v_mov_b32_e32 v0, v7
	v_sub_nc_u32_e32 v13, 0x3f1, v10
	v_add_nc_u32_e32 v10, 0xfffffc10, v10
	v_cndmask_b32_e64 v12, 0, 1, vcc_lo
	v_cmp_ne_u32_e32 vcc_lo, 0, v2
	v_sub_nc_u32_e32 v14, 0x3f1, v11
	v_med3_i32 v13, v13, 0, 13
	v_add_nc_u32_e32 v11, 0xfffffc10, v11
	v_and_or_b32 v12, 0xffe, v8, v12
	v_cndmask_b32_e64 v2, 0, 1, vcc_lo
	v_mad_u64_u32 v[7:8], null, s7, v16, v[5:6]
	v_med3_i32 v14, v14, 0, 13
	v_or_b32_e32 v15, 0x1000, v12
	v_and_or_b32 v2, 0xffe, v9, v2
	v_mad_u64_u32 v[8:9], null, s5, v37, v[0:1]
	v_lshrrev_b32_e32 v3, 16, v3
	v_lshrrev_b32_e32 v0, v13, v15
	v_or_b32_e32 v16, 0x1000, v2
	v_mov_b32_e32 v5, v7
	v_mov_b32_e32 v7, v8
	v_lshrrev_b32_e32 v9, v14, v16
	v_lshlrev_b32_e32 v13, v13, v0
	v_lshlrev_b64 v[4:5], 2, v[4:5]
	v_lshlrev_b32_e32 v8, v14, v9
	v_cmp_ne_u32_e32 vcc_lo, v13, v15
	v_lshl_or_b32 v14, v10, 12, v12
	v_cndmask_b32_e64 v13, 0, 1, vcc_lo
	v_cmp_ne_u32_e32 vcc_lo, v8, v16
	v_or_b32_e32 v0, v0, v13
	v_cndmask_b32_e64 v8, 0, 1, vcc_lo
	v_cmp_gt_i32_e32 vcc_lo, 1, v10
	v_lshl_or_b32 v13, v11, 12, v2
	v_or_b32_e32 v8, v9, v8
	v_cndmask_b32_e32 v0, v14, v0, vcc_lo
	v_cmp_gt_i32_e32 vcc_lo, 1, v11
	v_lshrrev_b32_e32 v9, 16, v1
	v_cndmask_b32_e32 v1, v13, v8, vcc_lo
	v_cmp_ne_u32_e32 vcc_lo, 0, v12
	v_and_b32_e32 v12, 7, v0
	v_lshrrev_b32_e32 v0, 2, v0
	v_and_b32_e32 v13, 7, v1
	v_cndmask_b32_e64 v8, 0, 1, vcc_lo
	v_cmp_ne_u32_e32 vcc_lo, 0, v2
	v_cmp_eq_u32_e64 s0, 3, v12
	v_lshrrev_b32_e32 v1, 2, v1
	v_cmp_lt_i32_e64 s1, 5, v13
	v_cmp_eq_u32_e64 s2, 3, v13
	v_cndmask_b32_e64 v2, 0, 1, vcc_lo
	v_cmp_lt_i32_e32 vcc_lo, 5, v12
	v_lshl_or_b32 v8, v8, 9, 0x7c00
	v_lshl_or_b32 v2, v2, 9, 0x7c00
	s_or_b32 vcc_lo, s0, vcc_lo
	v_add_co_ci_u32_e32 v0, vcc_lo, 0, v0, vcc_lo
	s_or_b32 vcc_lo, s2, s1
	v_add_co_ci_u32_e32 v1, vcc_lo, 0, v1, vcc_lo
	v_cmp_gt_i32_e32 vcc_lo, 31, v10
	v_cndmask_b32_e32 v0, 0x7c00, v0, vcc_lo
	v_cmp_gt_i32_e32 vcc_lo, 31, v11
	v_cndmask_b32_e32 v12, 0x7c00, v1, vcc_lo
	v_cmp_eq_u32_e32 vcc_lo, 0x40f, v10
	v_cndmask_b32_e32 v8, v0, v8, vcc_lo
	v_cmp_eq_u32_e32 vcc_lo, 0x40f, v11
	v_lshlrev_b64 v[0:1], 2, v[6:7]
	v_and_or_b32 v6, 0x8000, v9, v8
	v_cndmask_b32_e32 v2, v12, v2, vcc_lo
	v_add_co_u32 v4, vcc_lo, s10, v4
	v_add_co_ci_u32_e32 v5, vcc_lo, s11, v5, vcc_lo
	v_and_or_b32 v2, 0x8000, v3, v2
	v_and_b32_e32 v3, 0xffff, v6
	v_add_co_u32 v0, vcc_lo, v4, v0
	v_add_co_ci_u32_e32 v1, vcc_lo, v5, v1, vcc_lo
	v_lshl_or_b32 v2, v2, 16, v3
	global_store_dword v[0:1], v2, off
	global_load_dword v4, v36, s[8:9] offset:264
	ds_read2_b32 v[2:3], v38 offset0:66 offset1:132
	s_waitcnt lgkmcnt(0)
	v_lshrrev_b32_e32 v5, 16, v2
	s_waitcnt vmcnt(0)
	v_mul_f16_sdwa v6, v5, v4 dst_sel:DWORD dst_unused:UNUSED_PAD src0_sel:DWORD src1_sel:WORD_1
	v_mul_f16_sdwa v7, v2, v4 dst_sel:DWORD dst_unused:UNUSED_PAD src0_sel:DWORD src1_sel:WORD_1
	v_fmac_f16_e32 v6, v2, v4
	v_fma_f16 v2, v4, v5, -v7
	v_cvt_f32_f16_e32 v4, v6
	v_cvt_f32_f16_e32 v2, v2
	v_cvt_f64_f32_e32 v[4:5], v4
	v_cvt_f64_f32_e32 v[6:7], v2
	v_mul_f64 v[4:5], v[4:5], s[12:13]
	v_mul_f64 v[6:7], v[6:7], s[12:13]
	v_and_or_b32 v2, 0x1ff, v5, v4
	v_and_or_b32 v6, 0x1ff, v7, v6
	v_lshrrev_b32_e32 v4, 8, v5
	v_bfe_u32 v8, v5, 20, 11
	v_lshrrev_b32_e32 v9, 8, v7
	v_cmp_ne_u32_e32 vcc_lo, 0, v2
	v_bfe_u32 v10, v7, 20, 11
	v_lshrrev_b32_e32 v5, 16, v5
	v_sub_nc_u32_e32 v11, 0x3f1, v8
	v_add_nc_u32_e32 v8, 0xfffffc10, v8
	v_cndmask_b32_e64 v2, 0, 1, vcc_lo
	v_cmp_ne_u32_e32 vcc_lo, 0, v6
	v_lshrrev_b32_e32 v7, 16, v7
	v_and_or_b32 v2, 0xffe, v4, v2
	v_cndmask_b32_e64 v6, 0, 1, vcc_lo
	v_sub_nc_u32_e32 v4, 0x3f1, v10
	v_add_nc_u32_e32 v10, 0xfffffc10, v10
	v_and_or_b32 v6, 0xffe, v9, v6
	v_med3_i32 v9, v11, 0, 13
	v_or_b32_e32 v11, 0x1000, v2
	v_med3_i32 v4, v4, 0, 13
	v_or_b32_e32 v12, 0x1000, v6
	v_lshrrev_b32_e32 v13, v9, v11
	v_lshrrev_b32_e32 v14, v4, v12
	v_lshlrev_b32_e32 v9, v9, v13
	v_lshlrev_b32_e32 v4, v4, v14
	v_cmp_ne_u32_e32 vcc_lo, v9, v11
	v_lshl_or_b32 v11, v8, 12, v2
	v_cndmask_b32_e64 v9, 0, 1, vcc_lo
	v_cmp_ne_u32_e32 vcc_lo, v4, v12
	v_lshl_or_b32 v12, v10, 12, v6
	v_or_b32_e32 v9, v13, v9
	v_cndmask_b32_e64 v4, 0, 1, vcc_lo
	v_cmp_gt_i32_e32 vcc_lo, 1, v8
	v_or_b32_e32 v4, v14, v4
	v_cndmask_b32_e32 v9, v11, v9, vcc_lo
	v_cmp_gt_i32_e32 vcc_lo, 1, v10
	v_and_b32_e32 v11, 7, v9
	v_cndmask_b32_e32 v4, v12, v4, vcc_lo
	v_cmp_ne_u32_e32 vcc_lo, 0, v2
	v_lshrrev_b32_e32 v9, 2, v9
	v_cmp_eq_u32_e64 s0, 3, v11
	v_and_b32_e32 v12, 7, v4
	v_cndmask_b32_e64 v2, 0, 1, vcc_lo
	v_cmp_ne_u32_e32 vcc_lo, 0, v6
	v_lshrrev_b32_e32 v4, 2, v4
	v_cmp_lt_i32_e64 s1, 5, v12
	v_cmp_eq_u32_e64 s2, 3, v12
	v_cndmask_b32_e64 v6, 0, 1, vcc_lo
	v_cmp_lt_i32_e32 vcc_lo, 5, v11
	v_lshl_or_b32 v2, v2, 9, 0x7c00
	v_lshl_or_b32 v6, v6, 9, 0x7c00
	s_or_b32 vcc_lo, s0, vcc_lo
	s_mul_i32 s0, s5, 0x108
	v_add_co_ci_u32_e32 v9, vcc_lo, 0, v9, vcc_lo
	s_or_b32 vcc_lo, s2, s1
	s_add_i32 s3, s3, s0
	v_add_co_ci_u32_e32 v4, vcc_lo, 0, v4, vcc_lo
	v_cmp_gt_i32_e32 vcc_lo, 31, v8
	v_cndmask_b32_e32 v9, 0x7c00, v9, vcc_lo
	v_cmp_gt_i32_e32 vcc_lo, 31, v10
	v_cndmask_b32_e32 v4, 0x7c00, v4, vcc_lo
	v_cmp_eq_u32_e32 vcc_lo, 0x40f, v8
	v_cndmask_b32_e32 v2, v9, v2, vcc_lo
	v_cmp_eq_u32_e32 vcc_lo, 0x40f, v10
	v_and_or_b32 v2, 0x8000, v5, v2
	v_cndmask_b32_e32 v4, v4, v6, vcc_lo
	v_add_co_u32 v0, vcc_lo, v0, s4
	v_add_co_ci_u32_e32 v1, vcc_lo, s3, v1, vcc_lo
	v_and_or_b32 v4, 0x8000, v7, v4
	v_and_b32_e32 v2, 0xffff, v2
	v_lshl_or_b32 v2, v4, 16, v2
	v_lshrrev_b32_e32 v4, 16, v3
	global_store_dword v[0:1], v2, off
	global_load_dword v2, v36, s[8:9] offset:528
	s_waitcnt vmcnt(0)
	v_mul_f16_sdwa v5, v4, v2 dst_sel:DWORD dst_unused:UNUSED_PAD src0_sel:DWORD src1_sel:WORD_1
	v_mul_f16_sdwa v6, v3, v2 dst_sel:DWORD dst_unused:UNUSED_PAD src0_sel:DWORD src1_sel:WORD_1
	v_fmac_f16_e32 v5, v3, v2
	v_fma_f16 v2, v2, v4, -v6
	v_cvt_f32_f16_e32 v3, v5
	v_cvt_f32_f16_e32 v4, v2
	v_cvt_f64_f32_e32 v[2:3], v3
	v_cvt_f64_f32_e32 v[4:5], v4
	v_mul_f64 v[2:3], v[2:3], s[12:13]
	v_mul_f64 v[4:5], v[4:5], s[12:13]
	v_and_or_b32 v2, 0x1ff, v3, v2
	v_and_or_b32 v4, 0x1ff, v5, v4
	v_lshrrev_b32_e32 v6, 8, v3
	v_bfe_u32 v7, v3, 20, 11
	v_lshrrev_b32_e32 v8, 8, v5
	v_cmp_ne_u32_e32 vcc_lo, 0, v2
	v_bfe_u32 v9, v5, 20, 11
	v_lshrrev_b32_e32 v3, 16, v3
	v_sub_nc_u32_e32 v10, 0x3f1, v7
	v_add_nc_u32_e32 v7, 0xfffffc10, v7
	v_cndmask_b32_e64 v2, 0, 1, vcc_lo
	v_cmp_ne_u32_e32 vcc_lo, 0, v4
	v_lshrrev_b32_e32 v5, 16, v5
	v_and_or_b32 v2, 0xffe, v6, v2
	v_cndmask_b32_e64 v4, 0, 1, vcc_lo
	v_sub_nc_u32_e32 v6, 0x3f1, v9
	v_add_nc_u32_e32 v9, 0xfffffc10, v9
	v_and_or_b32 v4, 0xffe, v8, v4
	v_med3_i32 v8, v10, 0, 13
	v_or_b32_e32 v10, 0x1000, v2
	v_med3_i32 v6, v6, 0, 13
	v_or_b32_e32 v11, 0x1000, v4
	v_lshrrev_b32_e32 v12, v8, v10
	v_lshrrev_b32_e32 v13, v6, v11
	v_lshlrev_b32_e32 v8, v8, v12
	v_lshlrev_b32_e32 v6, v6, v13
	v_cmp_ne_u32_e32 vcc_lo, v8, v10
	v_lshl_or_b32 v10, v7, 12, v2
	v_cndmask_b32_e64 v8, 0, 1, vcc_lo
	v_cmp_ne_u32_e32 vcc_lo, v6, v11
	v_lshl_or_b32 v11, v9, 12, v4
	v_or_b32_e32 v8, v12, v8
	v_cndmask_b32_e64 v6, 0, 1, vcc_lo
	v_cmp_gt_i32_e32 vcc_lo, 1, v7
	v_or_b32_e32 v6, v13, v6
	v_cndmask_b32_e32 v8, v10, v8, vcc_lo
	v_cmp_gt_i32_e32 vcc_lo, 1, v9
	v_and_b32_e32 v10, 7, v8
	v_cndmask_b32_e32 v6, v11, v6, vcc_lo
	v_cmp_ne_u32_e32 vcc_lo, 0, v2
	v_lshrrev_b32_e32 v8, 2, v8
	v_cmp_eq_u32_e64 s0, 3, v10
	v_and_b32_e32 v11, 7, v6
	v_cndmask_b32_e64 v2, 0, 1, vcc_lo
	v_cmp_ne_u32_e32 vcc_lo, 0, v4
	v_lshrrev_b32_e32 v6, 2, v6
	v_cmp_lt_i32_e64 s1, 5, v11
	v_cmp_eq_u32_e64 s2, 3, v11
	v_cndmask_b32_e64 v4, 0, 1, vcc_lo
	v_cmp_lt_i32_e32 vcc_lo, 5, v10
	v_lshl_or_b32 v2, v2, 9, 0x7c00
	v_lshl_or_b32 v4, v4, 9, 0x7c00
	s_or_b32 vcc_lo, s0, vcc_lo
	v_add_co_ci_u32_e32 v8, vcc_lo, 0, v8, vcc_lo
	s_or_b32 vcc_lo, s2, s1
	v_add_co_ci_u32_e32 v6, vcc_lo, 0, v6, vcc_lo
	v_cmp_gt_i32_e32 vcc_lo, 31, v7
	v_cndmask_b32_e32 v8, 0x7c00, v8, vcc_lo
	v_cmp_gt_i32_e32 vcc_lo, 31, v9
	v_cndmask_b32_e32 v6, 0x7c00, v6, vcc_lo
	v_cmp_eq_u32_e32 vcc_lo, 0x40f, v7
	v_cndmask_b32_e32 v2, v8, v2, vcc_lo
	v_cmp_eq_u32_e32 vcc_lo, 0x40f, v9
	v_and_or_b32 v2, 0x8000, v3, v2
	v_cndmask_b32_e32 v4, v6, v4, vcc_lo
	v_add_co_u32 v0, vcc_lo, v0, s4
	v_add_co_ci_u32_e32 v1, vcc_lo, s3, v1, vcc_lo
	v_and_or_b32 v3, 0x8000, v5, v4
	v_and_b32_e32 v2, 0xffff, v2
	v_lshl_or_b32 v2, v3, 16, v2
	global_store_dword v[0:1], v2, off
	global_load_dword v4, v36, s[8:9] offset:792
	v_add_nc_u32_e32 v2, 0x200, v38
	ds_read2_b32 v[2:3], v2 offset0:70 offset1:136
	s_waitcnt lgkmcnt(0)
	v_lshrrev_b32_e32 v5, 16, v2
	s_waitcnt vmcnt(0)
	v_mul_f16_sdwa v6, v5, v4 dst_sel:DWORD dst_unused:UNUSED_PAD src0_sel:DWORD src1_sel:WORD_1
	v_mul_f16_sdwa v7, v2, v4 dst_sel:DWORD dst_unused:UNUSED_PAD src0_sel:DWORD src1_sel:WORD_1
	v_fmac_f16_e32 v6, v2, v4
	v_fma_f16 v2, v4, v5, -v7
	v_cvt_f32_f16_e32 v4, v6
	v_cvt_f32_f16_e32 v2, v2
	v_cvt_f64_f32_e32 v[4:5], v4
	v_cvt_f64_f32_e32 v[6:7], v2
	v_mul_f64 v[4:5], v[4:5], s[12:13]
	v_mul_f64 v[6:7], v[6:7], s[12:13]
	v_and_or_b32 v2, 0x1ff, v5, v4
	v_and_or_b32 v6, 0x1ff, v7, v6
	v_lshrrev_b32_e32 v4, 8, v5
	v_bfe_u32 v8, v5, 20, 11
	v_lshrrev_b32_e32 v9, 8, v7
	v_cmp_ne_u32_e32 vcc_lo, 0, v2
	v_bfe_u32 v10, v7, 20, 11
	v_lshrrev_b32_e32 v5, 16, v5
	v_sub_nc_u32_e32 v11, 0x3f1, v8
	v_add_nc_u32_e32 v8, 0xfffffc10, v8
	v_cndmask_b32_e64 v2, 0, 1, vcc_lo
	v_cmp_ne_u32_e32 vcc_lo, 0, v6
	v_lshrrev_b32_e32 v7, 16, v7
	v_and_or_b32 v2, 0xffe, v4, v2
	v_cndmask_b32_e64 v6, 0, 1, vcc_lo
	v_sub_nc_u32_e32 v4, 0x3f1, v10
	v_add_nc_u32_e32 v10, 0xfffffc10, v10
	v_and_or_b32 v6, 0xffe, v9, v6
	v_med3_i32 v9, v11, 0, 13
	v_or_b32_e32 v11, 0x1000, v2
	v_med3_i32 v4, v4, 0, 13
	v_or_b32_e32 v12, 0x1000, v6
	v_lshrrev_b32_e32 v13, v9, v11
	v_lshrrev_b32_e32 v14, v4, v12
	v_lshlrev_b32_e32 v9, v9, v13
	v_lshlrev_b32_e32 v4, v4, v14
	v_cmp_ne_u32_e32 vcc_lo, v9, v11
	v_lshl_or_b32 v11, v8, 12, v2
	v_cndmask_b32_e64 v9, 0, 1, vcc_lo
	v_cmp_ne_u32_e32 vcc_lo, v4, v12
	v_lshl_or_b32 v12, v10, 12, v6
	v_or_b32_e32 v9, v13, v9
	v_cndmask_b32_e64 v4, 0, 1, vcc_lo
	v_cmp_gt_i32_e32 vcc_lo, 1, v8
	v_or_b32_e32 v4, v14, v4
	v_cndmask_b32_e32 v9, v11, v9, vcc_lo
	v_cmp_gt_i32_e32 vcc_lo, 1, v10
	v_and_b32_e32 v11, 7, v9
	v_cndmask_b32_e32 v4, v12, v4, vcc_lo
	v_cmp_ne_u32_e32 vcc_lo, 0, v2
	v_lshrrev_b32_e32 v9, 2, v9
	v_cmp_eq_u32_e64 s0, 3, v11
	v_and_b32_e32 v12, 7, v4
	v_cndmask_b32_e64 v2, 0, 1, vcc_lo
	v_cmp_ne_u32_e32 vcc_lo, 0, v6
	v_lshrrev_b32_e32 v4, 2, v4
	v_cmp_lt_i32_e64 s1, 5, v12
	v_cmp_eq_u32_e64 s2, 3, v12
	v_cndmask_b32_e64 v6, 0, 1, vcc_lo
	v_cmp_lt_i32_e32 vcc_lo, 5, v11
	v_lshl_or_b32 v2, v2, 9, 0x7c00
	v_lshl_or_b32 v6, v6, 9, 0x7c00
	s_or_b32 vcc_lo, s0, vcc_lo
	v_add_co_ci_u32_e32 v9, vcc_lo, 0, v9, vcc_lo
	s_or_b32 vcc_lo, s2, s1
	v_add_co_ci_u32_e32 v4, vcc_lo, 0, v4, vcc_lo
	v_cmp_gt_i32_e32 vcc_lo, 31, v8
	v_cndmask_b32_e32 v9, 0x7c00, v9, vcc_lo
	v_cmp_gt_i32_e32 vcc_lo, 31, v10
	v_cndmask_b32_e32 v4, 0x7c00, v4, vcc_lo
	v_cmp_eq_u32_e32 vcc_lo, 0x40f, v8
	v_cndmask_b32_e32 v2, v9, v2, vcc_lo
	v_cmp_eq_u32_e32 vcc_lo, 0x40f, v10
	v_and_or_b32 v2, 0x8000, v5, v2
	v_cndmask_b32_e32 v4, v4, v6, vcc_lo
	v_add_co_u32 v0, vcc_lo, v0, s4
	v_add_co_ci_u32_e32 v1, vcc_lo, s3, v1, vcc_lo
	v_and_or_b32 v4, 0x8000, v7, v4
	v_and_b32_e32 v2, 0xffff, v2
	v_lshl_or_b32 v2, v4, 16, v2
	v_lshrrev_b32_e32 v4, 16, v3
	global_store_dword v[0:1], v2, off
	global_load_dword v2, v36, s[8:9] offset:1056
	s_waitcnt vmcnt(0)
	v_mul_f16_sdwa v5, v4, v2 dst_sel:DWORD dst_unused:UNUSED_PAD src0_sel:DWORD src1_sel:WORD_1
	v_mul_f16_sdwa v6, v3, v2 dst_sel:DWORD dst_unused:UNUSED_PAD src0_sel:DWORD src1_sel:WORD_1
	v_fmac_f16_e32 v5, v3, v2
	v_fma_f16 v2, v2, v4, -v6
	v_cvt_f32_f16_e32 v3, v5
	v_cvt_f32_f16_e32 v4, v2
	v_cvt_f64_f32_e32 v[2:3], v3
	v_cvt_f64_f32_e32 v[4:5], v4
	v_mul_f64 v[2:3], v[2:3], s[12:13]
	v_mul_f64 v[4:5], v[4:5], s[12:13]
	v_and_or_b32 v2, 0x1ff, v3, v2
	v_and_or_b32 v4, 0x1ff, v5, v4
	v_lshrrev_b32_e32 v6, 8, v3
	v_bfe_u32 v7, v3, 20, 11
	v_lshrrev_b32_e32 v8, 8, v5
	v_cmp_ne_u32_e32 vcc_lo, 0, v2
	v_bfe_u32 v9, v5, 20, 11
	v_lshrrev_b32_e32 v3, 16, v3
	v_sub_nc_u32_e32 v10, 0x3f1, v7
	v_add_nc_u32_e32 v7, 0xfffffc10, v7
	v_cndmask_b32_e64 v2, 0, 1, vcc_lo
	v_cmp_ne_u32_e32 vcc_lo, 0, v4
	v_lshrrev_b32_e32 v5, 16, v5
	v_and_or_b32 v2, 0xffe, v6, v2
	v_cndmask_b32_e64 v4, 0, 1, vcc_lo
	v_sub_nc_u32_e32 v6, 0x3f1, v9
	v_add_nc_u32_e32 v9, 0xfffffc10, v9
	v_and_or_b32 v4, 0xffe, v8, v4
	v_med3_i32 v8, v10, 0, 13
	v_or_b32_e32 v10, 0x1000, v2
	v_med3_i32 v6, v6, 0, 13
	v_or_b32_e32 v11, 0x1000, v4
	v_lshrrev_b32_e32 v12, v8, v10
	v_lshrrev_b32_e32 v13, v6, v11
	v_lshlrev_b32_e32 v8, v8, v12
	v_lshlrev_b32_e32 v6, v6, v13
	v_cmp_ne_u32_e32 vcc_lo, v8, v10
	v_lshl_or_b32 v10, v7, 12, v2
	v_cndmask_b32_e64 v8, 0, 1, vcc_lo
	v_cmp_ne_u32_e32 vcc_lo, v6, v11
	v_lshl_or_b32 v11, v9, 12, v4
	v_or_b32_e32 v8, v12, v8
	v_cndmask_b32_e64 v6, 0, 1, vcc_lo
	v_cmp_gt_i32_e32 vcc_lo, 1, v7
	v_or_b32_e32 v6, v13, v6
	v_cndmask_b32_e32 v8, v10, v8, vcc_lo
	v_cmp_gt_i32_e32 vcc_lo, 1, v9
	v_and_b32_e32 v10, 7, v8
	v_cndmask_b32_e32 v6, v11, v6, vcc_lo
	v_cmp_ne_u32_e32 vcc_lo, 0, v2
	v_lshrrev_b32_e32 v8, 2, v8
	v_cmp_eq_u32_e64 s0, 3, v10
	v_and_b32_e32 v11, 7, v6
	v_cndmask_b32_e64 v2, 0, 1, vcc_lo
	v_cmp_ne_u32_e32 vcc_lo, 0, v4
	v_lshrrev_b32_e32 v6, 2, v6
	v_cmp_lt_i32_e64 s1, 5, v11
	v_cmp_eq_u32_e64 s2, 3, v11
	v_cndmask_b32_e64 v4, 0, 1, vcc_lo
	v_cmp_lt_i32_e32 vcc_lo, 5, v10
	v_lshl_or_b32 v2, v2, 9, 0x7c00
	v_lshl_or_b32 v4, v4, 9, 0x7c00
	s_or_b32 vcc_lo, s0, vcc_lo
	v_add_co_ci_u32_e32 v8, vcc_lo, 0, v8, vcc_lo
	s_or_b32 vcc_lo, s2, s1
	v_add_co_ci_u32_e32 v6, vcc_lo, 0, v6, vcc_lo
	v_cmp_gt_i32_e32 vcc_lo, 31, v7
	v_cndmask_b32_e32 v8, 0x7c00, v8, vcc_lo
	v_cmp_gt_i32_e32 vcc_lo, 31, v9
	v_cndmask_b32_e32 v6, 0x7c00, v6, vcc_lo
	v_cmp_eq_u32_e32 vcc_lo, 0x40f, v7
	v_cndmask_b32_e32 v2, v8, v2, vcc_lo
	v_cmp_eq_u32_e32 vcc_lo, 0x40f, v9
	v_and_or_b32 v2, 0x8000, v3, v2
	v_cndmask_b32_e32 v4, v6, v4, vcc_lo
	v_add_co_u32 v0, vcc_lo, v0, s4
	v_add_co_ci_u32_e32 v1, vcc_lo, s3, v1, vcc_lo
	v_and_or_b32 v3, 0x8000, v5, v4
	v_and_b32_e32 v2, 0xffff, v2
	v_lshl_or_b32 v2, v3, 16, v2
	global_store_dword v[0:1], v2, off
	global_load_dword v4, v36, s[8:9] offset:1320
	v_add_nc_u32_e32 v2, 0x400, v38
	ds_read2_b32 v[2:3], v2 offset0:74 offset1:140
	s_waitcnt lgkmcnt(0)
	v_lshrrev_b32_e32 v5, 16, v2
	s_waitcnt vmcnt(0)
	v_mul_f16_sdwa v6, v5, v4 dst_sel:DWORD dst_unused:UNUSED_PAD src0_sel:DWORD src1_sel:WORD_1
	v_mul_f16_sdwa v7, v2, v4 dst_sel:DWORD dst_unused:UNUSED_PAD src0_sel:DWORD src1_sel:WORD_1
	v_fmac_f16_e32 v6, v2, v4
	v_fma_f16 v2, v4, v5, -v7
	v_cvt_f32_f16_e32 v4, v6
	v_cvt_f32_f16_e32 v2, v2
	v_cvt_f64_f32_e32 v[4:5], v4
	v_cvt_f64_f32_e32 v[6:7], v2
	v_mul_f64 v[4:5], v[4:5], s[12:13]
	v_mul_f64 v[6:7], v[6:7], s[12:13]
	v_and_or_b32 v2, 0x1ff, v5, v4
	v_and_or_b32 v6, 0x1ff, v7, v6
	v_lshrrev_b32_e32 v4, 8, v5
	v_bfe_u32 v8, v5, 20, 11
	v_lshrrev_b32_e32 v9, 8, v7
	v_cmp_ne_u32_e32 vcc_lo, 0, v2
	v_bfe_u32 v10, v7, 20, 11
	v_lshrrev_b32_e32 v5, 16, v5
	v_sub_nc_u32_e32 v11, 0x3f1, v8
	v_add_nc_u32_e32 v8, 0xfffffc10, v8
	v_cndmask_b32_e64 v2, 0, 1, vcc_lo
	v_cmp_ne_u32_e32 vcc_lo, 0, v6
	v_lshrrev_b32_e32 v7, 16, v7
	v_and_or_b32 v2, 0xffe, v4, v2
	v_cndmask_b32_e64 v6, 0, 1, vcc_lo
	v_sub_nc_u32_e32 v4, 0x3f1, v10
	v_add_nc_u32_e32 v10, 0xfffffc10, v10
	v_and_or_b32 v6, 0xffe, v9, v6
	v_med3_i32 v9, v11, 0, 13
	v_or_b32_e32 v11, 0x1000, v2
	v_med3_i32 v4, v4, 0, 13
	v_or_b32_e32 v12, 0x1000, v6
	v_lshrrev_b32_e32 v13, v9, v11
	v_lshrrev_b32_e32 v14, v4, v12
	v_lshlrev_b32_e32 v9, v9, v13
	v_lshlrev_b32_e32 v4, v4, v14
	v_cmp_ne_u32_e32 vcc_lo, v9, v11
	v_lshl_or_b32 v11, v8, 12, v2
	v_cndmask_b32_e64 v9, 0, 1, vcc_lo
	v_cmp_ne_u32_e32 vcc_lo, v4, v12
	v_lshl_or_b32 v12, v10, 12, v6
	v_or_b32_e32 v9, v13, v9
	v_cndmask_b32_e64 v4, 0, 1, vcc_lo
	v_cmp_gt_i32_e32 vcc_lo, 1, v8
	v_or_b32_e32 v4, v14, v4
	v_cndmask_b32_e32 v9, v11, v9, vcc_lo
	v_cmp_gt_i32_e32 vcc_lo, 1, v10
	v_and_b32_e32 v11, 7, v9
	v_cndmask_b32_e32 v4, v12, v4, vcc_lo
	v_cmp_ne_u32_e32 vcc_lo, 0, v2
	v_lshrrev_b32_e32 v9, 2, v9
	v_cmp_eq_u32_e64 s0, 3, v11
	v_and_b32_e32 v12, 7, v4
	v_cndmask_b32_e64 v2, 0, 1, vcc_lo
	v_cmp_ne_u32_e32 vcc_lo, 0, v6
	v_lshrrev_b32_e32 v4, 2, v4
	v_cmp_lt_i32_e64 s1, 5, v12
	v_cmp_eq_u32_e64 s2, 3, v12
	v_cndmask_b32_e64 v6, 0, 1, vcc_lo
	v_cmp_lt_i32_e32 vcc_lo, 5, v11
	v_lshl_or_b32 v2, v2, 9, 0x7c00
	v_lshl_or_b32 v6, v6, 9, 0x7c00
	s_or_b32 vcc_lo, s0, vcc_lo
	v_add_co_ci_u32_e32 v9, vcc_lo, 0, v9, vcc_lo
	s_or_b32 vcc_lo, s2, s1
	v_add_co_ci_u32_e32 v4, vcc_lo, 0, v4, vcc_lo
	v_cmp_gt_i32_e32 vcc_lo, 31, v8
	v_cndmask_b32_e32 v9, 0x7c00, v9, vcc_lo
	v_cmp_gt_i32_e32 vcc_lo, 31, v10
	v_cndmask_b32_e32 v4, 0x7c00, v4, vcc_lo
	v_cmp_eq_u32_e32 vcc_lo, 0x40f, v8
	v_cndmask_b32_e32 v2, v9, v2, vcc_lo
	v_cmp_eq_u32_e32 vcc_lo, 0x40f, v10
	v_and_or_b32 v2, 0x8000, v5, v2
	v_cndmask_b32_e32 v4, v4, v6, vcc_lo
	v_add_co_u32 v0, vcc_lo, v0, s4
	v_add_co_ci_u32_e32 v1, vcc_lo, s3, v1, vcc_lo
	v_and_or_b32 v4, 0x8000, v7, v4
	v_and_b32_e32 v2, 0xffff, v2
	v_lshl_or_b32 v2, v4, 16, v2
	v_lshrrev_b32_e32 v4, 16, v3
	global_store_dword v[0:1], v2, off
	global_load_dword v2, v36, s[8:9] offset:1584
	s_waitcnt vmcnt(0)
	v_mul_f16_sdwa v5, v4, v2 dst_sel:DWORD dst_unused:UNUSED_PAD src0_sel:DWORD src1_sel:WORD_1
	v_mul_f16_sdwa v6, v3, v2 dst_sel:DWORD dst_unused:UNUSED_PAD src0_sel:DWORD src1_sel:WORD_1
	v_fmac_f16_e32 v5, v3, v2
	v_fma_f16 v2, v2, v4, -v6
	v_cvt_f32_f16_e32 v3, v5
	v_cvt_f32_f16_e32 v4, v2
	v_cvt_f64_f32_e32 v[2:3], v3
	v_cvt_f64_f32_e32 v[4:5], v4
	v_mul_f64 v[2:3], v[2:3], s[12:13]
	v_mul_f64 v[4:5], v[4:5], s[12:13]
	v_and_or_b32 v2, 0x1ff, v3, v2
	v_and_or_b32 v4, 0x1ff, v5, v4
	v_lshrrev_b32_e32 v6, 8, v3
	v_bfe_u32 v7, v3, 20, 11
	v_lshrrev_b32_e32 v8, 8, v5
	v_cmp_ne_u32_e32 vcc_lo, 0, v2
	v_bfe_u32 v9, v5, 20, 11
	v_lshrrev_b32_e32 v3, 16, v3
	v_sub_nc_u32_e32 v10, 0x3f1, v7
	v_add_nc_u32_e32 v7, 0xfffffc10, v7
	v_cndmask_b32_e64 v2, 0, 1, vcc_lo
	v_cmp_ne_u32_e32 vcc_lo, 0, v4
	v_lshrrev_b32_e32 v5, 16, v5
	v_and_or_b32 v2, 0xffe, v6, v2
	v_cndmask_b32_e64 v4, 0, 1, vcc_lo
	v_sub_nc_u32_e32 v6, 0x3f1, v9
	v_add_nc_u32_e32 v9, 0xfffffc10, v9
	v_and_or_b32 v4, 0xffe, v8, v4
	v_med3_i32 v8, v10, 0, 13
	v_or_b32_e32 v10, 0x1000, v2
	v_med3_i32 v6, v6, 0, 13
	v_or_b32_e32 v11, 0x1000, v4
	v_lshrrev_b32_e32 v12, v8, v10
	v_lshrrev_b32_e32 v13, v6, v11
	v_lshlrev_b32_e32 v8, v8, v12
	v_lshlrev_b32_e32 v6, v6, v13
	v_cmp_ne_u32_e32 vcc_lo, v8, v10
	v_lshl_or_b32 v10, v7, 12, v2
	v_cndmask_b32_e64 v8, 0, 1, vcc_lo
	v_cmp_ne_u32_e32 vcc_lo, v6, v11
	v_lshl_or_b32 v11, v9, 12, v4
	v_or_b32_e32 v8, v12, v8
	v_cndmask_b32_e64 v6, 0, 1, vcc_lo
	v_cmp_gt_i32_e32 vcc_lo, 1, v7
	v_or_b32_e32 v6, v13, v6
	v_cndmask_b32_e32 v8, v10, v8, vcc_lo
	v_cmp_gt_i32_e32 vcc_lo, 1, v9
	v_and_b32_e32 v10, 7, v8
	v_cndmask_b32_e32 v6, v11, v6, vcc_lo
	v_cmp_ne_u32_e32 vcc_lo, 0, v2
	v_lshrrev_b32_e32 v8, 2, v8
	v_cmp_eq_u32_e64 s0, 3, v10
	v_and_b32_e32 v11, 7, v6
	v_cndmask_b32_e64 v2, 0, 1, vcc_lo
	v_cmp_ne_u32_e32 vcc_lo, 0, v4
	v_lshrrev_b32_e32 v6, 2, v6
	v_cmp_lt_i32_e64 s1, 5, v11
	v_cmp_eq_u32_e64 s2, 3, v11
	v_cndmask_b32_e64 v4, 0, 1, vcc_lo
	v_cmp_lt_i32_e32 vcc_lo, 5, v10
	v_lshl_or_b32 v2, v2, 9, 0x7c00
	v_lshl_or_b32 v4, v4, 9, 0x7c00
	s_or_b32 vcc_lo, s0, vcc_lo
	v_add_co_ci_u32_e32 v8, vcc_lo, 0, v8, vcc_lo
	s_or_b32 vcc_lo, s2, s1
	v_add_co_ci_u32_e32 v6, vcc_lo, 0, v6, vcc_lo
	v_cmp_gt_i32_e32 vcc_lo, 31, v7
	v_cndmask_b32_e32 v8, 0x7c00, v8, vcc_lo
	v_cmp_gt_i32_e32 vcc_lo, 31, v9
	v_cndmask_b32_e32 v6, 0x7c00, v6, vcc_lo
	v_cmp_eq_u32_e32 vcc_lo, 0x40f, v7
	v_cndmask_b32_e32 v2, v8, v2, vcc_lo
	v_cmp_eq_u32_e32 vcc_lo, 0x40f, v9
	v_and_or_b32 v2, 0x8000, v3, v2
	v_cndmask_b32_e32 v4, v6, v4, vcc_lo
	v_add_co_u32 v0, vcc_lo, v0, s4
	v_add_co_ci_u32_e32 v1, vcc_lo, s3, v1, vcc_lo
	v_and_or_b32 v3, 0x8000, v5, v4
	v_and_b32_e32 v2, 0xffff, v2
	v_lshl_or_b32 v2, v3, 16, v2
	v_add_nc_u32_e32 v3, 0x600, v38
	global_store_dword v[0:1], v2, off
	global_load_dword v2, v36, s[8:9] offset:1848
	ds_read2_b32 v[3:4], v3 offset0:78 offset1:144
	s_waitcnt lgkmcnt(0)
	v_lshrrev_b32_e32 v5, 16, v3
	s_waitcnt vmcnt(0)
	v_mul_f16_sdwa v6, v5, v2 dst_sel:DWORD dst_unused:UNUSED_PAD src0_sel:DWORD src1_sel:WORD_1
	v_mul_f16_sdwa v7, v3, v2 dst_sel:DWORD dst_unused:UNUSED_PAD src0_sel:DWORD src1_sel:WORD_1
	v_fmac_f16_e32 v6, v3, v2
	v_fma_f16 v2, v2, v5, -v7
	v_cvt_f32_f16_e32 v3, v6
	v_cvt_f32_f16_e32 v5, v2
	v_cvt_f64_f32_e32 v[2:3], v3
	v_cvt_f64_f32_e32 v[5:6], v5
	v_mul_f64 v[2:3], v[2:3], s[12:13]
	v_mul_f64 v[5:6], v[5:6], s[12:13]
	v_and_or_b32 v2, 0x1ff, v3, v2
	v_and_or_b32 v5, 0x1ff, v6, v5
	v_lshrrev_b32_e32 v7, 8, v3
	v_bfe_u32 v8, v3, 20, 11
	v_lshrrev_b32_e32 v9, 8, v6
	v_cmp_ne_u32_e32 vcc_lo, 0, v2
	v_bfe_u32 v10, v6, 20, 11
	v_lshrrev_b32_e32 v3, 16, v3
	v_sub_nc_u32_e32 v11, 0x3f1, v8
	v_add_nc_u32_e32 v8, 0xfffffc10, v8
	v_cndmask_b32_e64 v2, 0, 1, vcc_lo
	v_cmp_ne_u32_e32 vcc_lo, 0, v5
	v_lshrrev_b32_e32 v6, 16, v6
	v_and_or_b32 v2, 0xffe, v7, v2
	v_cndmask_b32_e64 v5, 0, 1, vcc_lo
	v_sub_nc_u32_e32 v7, 0x3f1, v10
	v_add_nc_u32_e32 v10, 0xfffffc10, v10
	v_and_or_b32 v5, 0xffe, v9, v5
	v_med3_i32 v9, v11, 0, 13
	v_or_b32_e32 v11, 0x1000, v2
	v_med3_i32 v7, v7, 0, 13
	v_or_b32_e32 v12, 0x1000, v5
	v_lshrrev_b32_e32 v13, v9, v11
	v_lshrrev_b32_e32 v14, v7, v12
	v_lshlrev_b32_e32 v9, v9, v13
	v_lshlrev_b32_e32 v7, v7, v14
	v_cmp_ne_u32_e32 vcc_lo, v9, v11
	v_lshl_or_b32 v11, v8, 12, v2
	v_cndmask_b32_e64 v9, 0, 1, vcc_lo
	v_cmp_ne_u32_e32 vcc_lo, v7, v12
	v_lshl_or_b32 v12, v10, 12, v5
	v_or_b32_e32 v9, v13, v9
	v_cndmask_b32_e64 v7, 0, 1, vcc_lo
	v_cmp_gt_i32_e32 vcc_lo, 1, v8
	v_or_b32_e32 v7, v14, v7
	v_cndmask_b32_e32 v9, v11, v9, vcc_lo
	v_cmp_gt_i32_e32 vcc_lo, 1, v10
	v_and_b32_e32 v11, 7, v9
	v_cndmask_b32_e32 v7, v12, v7, vcc_lo
	v_cmp_ne_u32_e32 vcc_lo, 0, v2
	v_lshrrev_b32_e32 v9, 2, v9
	v_cmp_eq_u32_e64 s0, 3, v11
	v_and_b32_e32 v12, 7, v7
	v_cndmask_b32_e64 v2, 0, 1, vcc_lo
	v_cmp_ne_u32_e32 vcc_lo, 0, v5
	v_lshrrev_b32_e32 v7, 2, v7
	v_cmp_lt_i32_e64 s1, 5, v12
	v_cmp_eq_u32_e64 s2, 3, v12
	v_cndmask_b32_e64 v5, 0, 1, vcc_lo
	v_cmp_lt_i32_e32 vcc_lo, 5, v11
	v_lshl_or_b32 v2, v2, 9, 0x7c00
	v_lshl_or_b32 v5, v5, 9, 0x7c00
	s_or_b32 vcc_lo, s0, vcc_lo
	v_add_co_ci_u32_e32 v9, vcc_lo, 0, v9, vcc_lo
	s_or_b32 vcc_lo, s2, s1
	v_add_co_ci_u32_e32 v7, vcc_lo, 0, v7, vcc_lo
	v_cmp_gt_i32_e32 vcc_lo, 31, v8
	v_cndmask_b32_e32 v9, 0x7c00, v9, vcc_lo
	v_cmp_gt_i32_e32 vcc_lo, 31, v10
	v_cndmask_b32_e32 v7, 0x7c00, v7, vcc_lo
	v_cmp_eq_u32_e32 vcc_lo, 0x40f, v8
	v_cndmask_b32_e32 v2, v9, v2, vcc_lo
	v_cmp_eq_u32_e32 vcc_lo, 0x40f, v10
	v_cndmask_b32_e32 v5, v7, v5, vcc_lo
	v_and_or_b32 v7, 0x8000, v3, v2
	v_add_co_u32 v2, s0, s8, v36
	v_add_co_ci_u32_e64 v3, null, s9, 0, s0
	v_and_or_b32 v8, 0x8000, v6, v5
	v_and_b32_e32 v7, 0xffff, v7
	v_add_co_u32 v5, vcc_lo, v0, s4
	v_add_co_ci_u32_e32 v6, vcc_lo, s3, v1, vcc_lo
	v_add_co_u32 v0, vcc_lo, 0x800, v2
	v_lshl_or_b32 v7, v8, 16, v7
	v_add_co_ci_u32_e32 v1, vcc_lo, 0, v3, vcc_lo
	v_lshrrev_b32_e32 v8, 16, v4
	global_store_dword v[5:6], v7, off
	global_load_dword v7, v[0:1], off offset:64
	s_waitcnt vmcnt(0)
	v_mul_f16_sdwa v9, v8, v7 dst_sel:DWORD dst_unused:UNUSED_PAD src0_sel:DWORD src1_sel:WORD_1
	v_mul_f16_sdwa v10, v4, v7 dst_sel:DWORD dst_unused:UNUSED_PAD src0_sel:DWORD src1_sel:WORD_1
	v_fmac_f16_e32 v9, v4, v7
	v_fma_f16 v4, v7, v8, -v10
	v_cvt_f32_f16_e32 v7, v9
	v_cvt_f32_f16_e32 v4, v4
	v_cvt_f64_f32_e32 v[7:8], v7
	v_cvt_f64_f32_e32 v[9:10], v4
	v_mul_f64 v[7:8], v[7:8], s[12:13]
	v_mul_f64 v[9:10], v[9:10], s[12:13]
	v_and_or_b32 v4, 0x1ff, v8, v7
	v_and_or_b32 v9, 0x1ff, v10, v9
	v_lshrrev_b32_e32 v7, 8, v8
	v_bfe_u32 v11, v8, 20, 11
	v_lshrrev_b32_e32 v12, 8, v10
	v_cmp_ne_u32_e32 vcc_lo, 0, v4
	v_bfe_u32 v13, v10, 20, 11
	v_lshrrev_b32_e32 v8, 16, v8
	v_sub_nc_u32_e32 v14, 0x3f1, v11
	v_add_nc_u32_e32 v11, 0xfffffc10, v11
	v_cndmask_b32_e64 v4, 0, 1, vcc_lo
	v_cmp_ne_u32_e32 vcc_lo, 0, v9
	v_lshrrev_b32_e32 v10, 16, v10
	v_and_or_b32 v4, 0xffe, v7, v4
	v_cndmask_b32_e64 v9, 0, 1, vcc_lo
	v_sub_nc_u32_e32 v7, 0x3f1, v13
	v_add_nc_u32_e32 v13, 0xfffffc10, v13
	v_and_or_b32 v9, 0xffe, v12, v9
	v_med3_i32 v12, v14, 0, 13
	v_or_b32_e32 v14, 0x1000, v4
	v_med3_i32 v7, v7, 0, 13
	v_or_b32_e32 v15, 0x1000, v9
	v_lshrrev_b32_e32 v16, v12, v14
	v_lshrrev_b32_e32 v17, v7, v15
	v_lshlrev_b32_e32 v12, v12, v16
	v_lshlrev_b32_e32 v7, v7, v17
	v_cmp_ne_u32_e32 vcc_lo, v12, v14
	v_lshl_or_b32 v14, v11, 12, v4
	v_cndmask_b32_e64 v12, 0, 1, vcc_lo
	v_cmp_ne_u32_e32 vcc_lo, v7, v15
	v_lshl_or_b32 v15, v13, 12, v9
	v_or_b32_e32 v12, v16, v12
	v_cndmask_b32_e64 v7, 0, 1, vcc_lo
	v_cmp_gt_i32_e32 vcc_lo, 1, v11
	v_or_b32_e32 v7, v17, v7
	v_cndmask_b32_e32 v12, v14, v12, vcc_lo
	v_cmp_gt_i32_e32 vcc_lo, 1, v13
	v_and_b32_e32 v14, 7, v12
	v_cndmask_b32_e32 v7, v15, v7, vcc_lo
	v_cmp_ne_u32_e32 vcc_lo, 0, v4
	v_lshrrev_b32_e32 v12, 2, v12
	v_cmp_eq_u32_e64 s0, 3, v14
	v_and_b32_e32 v15, 7, v7
	v_cndmask_b32_e64 v4, 0, 1, vcc_lo
	v_cmp_ne_u32_e32 vcc_lo, 0, v9
	v_lshrrev_b32_e32 v7, 2, v7
	v_cmp_lt_i32_e64 s1, 5, v15
	v_cmp_eq_u32_e64 s2, 3, v15
	v_cndmask_b32_e64 v9, 0, 1, vcc_lo
	v_cmp_lt_i32_e32 vcc_lo, 5, v14
	v_lshl_or_b32 v4, v4, 9, 0x7c00
	v_lshl_or_b32 v9, v9, 9, 0x7c00
	s_or_b32 vcc_lo, s0, vcc_lo
	v_add_co_ci_u32_e32 v12, vcc_lo, 0, v12, vcc_lo
	s_or_b32 vcc_lo, s2, s1
	v_add_co_ci_u32_e32 v7, vcc_lo, 0, v7, vcc_lo
	v_cmp_gt_i32_e32 vcc_lo, 31, v11
	v_cndmask_b32_e32 v12, 0x7c00, v12, vcc_lo
	v_cmp_gt_i32_e32 vcc_lo, 31, v13
	v_cndmask_b32_e32 v7, 0x7c00, v7, vcc_lo
	v_cmp_eq_u32_e32 vcc_lo, 0x40f, v11
	v_cndmask_b32_e32 v4, v12, v4, vcc_lo
	v_cmp_eq_u32_e32 vcc_lo, 0x40f, v13
	v_and_or_b32 v4, 0x8000, v8, v4
	v_cndmask_b32_e32 v7, v7, v9, vcc_lo
	v_and_b32_e32 v8, 0xffff, v4
	v_and_or_b32 v7, 0x8000, v10, v7
	v_add_co_u32 v4, vcc_lo, v5, s4
	v_add_co_ci_u32_e32 v5, vcc_lo, s3, v6, vcc_lo
	v_lshl_or_b32 v6, v7, 16, v8
	global_store_dword v[4:5], v6, off
	global_load_dword v8, v[0:1], off offset:328
	v_add_nc_u32_e32 v6, 0x800, v38
	ds_read2_b32 v[6:7], v6 offset0:82 offset1:148
	s_waitcnt lgkmcnt(0)
	v_lshrrev_b32_e32 v9, 16, v6
	s_waitcnt vmcnt(0)
	v_mul_f16_sdwa v10, v9, v8 dst_sel:DWORD dst_unused:UNUSED_PAD src0_sel:DWORD src1_sel:WORD_1
	v_mul_f16_sdwa v11, v6, v8 dst_sel:DWORD dst_unused:UNUSED_PAD src0_sel:DWORD src1_sel:WORD_1
	v_fmac_f16_e32 v10, v6, v8
	v_fma_f16 v6, v8, v9, -v11
	v_cvt_f32_f16_e32 v8, v10
	v_cvt_f32_f16_e32 v6, v6
	v_cvt_f64_f32_e32 v[8:9], v8
	v_cvt_f64_f32_e32 v[10:11], v6
	v_mul_f64 v[8:9], v[8:9], s[12:13]
	v_mul_f64 v[10:11], v[10:11], s[12:13]
	v_and_or_b32 v6, 0x1ff, v9, v8
	v_and_or_b32 v10, 0x1ff, v11, v10
	v_lshrrev_b32_e32 v8, 8, v9
	v_bfe_u32 v12, v9, 20, 11
	v_lshrrev_b32_e32 v13, 8, v11
	v_cmp_ne_u32_e32 vcc_lo, 0, v6
	v_bfe_u32 v14, v11, 20, 11
	v_lshrrev_b32_e32 v9, 16, v9
	v_sub_nc_u32_e32 v15, 0x3f1, v12
	v_add_nc_u32_e32 v12, 0xfffffc10, v12
	v_cndmask_b32_e64 v6, 0, 1, vcc_lo
	v_cmp_ne_u32_e32 vcc_lo, 0, v10
	v_lshrrev_b32_e32 v11, 16, v11
	v_and_or_b32 v6, 0xffe, v8, v6
	v_cndmask_b32_e64 v10, 0, 1, vcc_lo
	v_sub_nc_u32_e32 v8, 0x3f1, v14
	v_add_nc_u32_e32 v14, 0xfffffc10, v14
	v_and_or_b32 v10, 0xffe, v13, v10
	v_med3_i32 v13, v15, 0, 13
	v_or_b32_e32 v15, 0x1000, v6
	v_med3_i32 v8, v8, 0, 13
	v_or_b32_e32 v16, 0x1000, v10
	v_lshrrev_b32_e32 v17, v13, v15
	v_lshrrev_b32_e32 v18, v8, v16
	v_lshlrev_b32_e32 v13, v13, v17
	v_lshlrev_b32_e32 v8, v8, v18
	v_cmp_ne_u32_e32 vcc_lo, v13, v15
	v_lshl_or_b32 v15, v12, 12, v6
	v_cndmask_b32_e64 v13, 0, 1, vcc_lo
	v_cmp_ne_u32_e32 vcc_lo, v8, v16
	v_lshl_or_b32 v16, v14, 12, v10
	v_or_b32_e32 v13, v17, v13
	v_cndmask_b32_e64 v8, 0, 1, vcc_lo
	v_cmp_gt_i32_e32 vcc_lo, 1, v12
	v_or_b32_e32 v8, v18, v8
	v_cndmask_b32_e32 v13, v15, v13, vcc_lo
	v_cmp_gt_i32_e32 vcc_lo, 1, v14
	v_and_b32_e32 v15, 7, v13
	v_cndmask_b32_e32 v8, v16, v8, vcc_lo
	v_cmp_ne_u32_e32 vcc_lo, 0, v6
	v_lshrrev_b32_e32 v13, 2, v13
	v_cmp_eq_u32_e64 s0, 3, v15
	v_and_b32_e32 v16, 7, v8
	v_cndmask_b32_e64 v6, 0, 1, vcc_lo
	v_cmp_ne_u32_e32 vcc_lo, 0, v10
	v_lshrrev_b32_e32 v8, 2, v8
	v_cmp_lt_i32_e64 s1, 5, v16
	v_cmp_eq_u32_e64 s2, 3, v16
	v_cndmask_b32_e64 v10, 0, 1, vcc_lo
	v_cmp_lt_i32_e32 vcc_lo, 5, v15
	v_lshl_or_b32 v6, v6, 9, 0x7c00
	v_lshl_or_b32 v10, v10, 9, 0x7c00
	s_or_b32 vcc_lo, s0, vcc_lo
	v_add_co_ci_u32_e32 v13, vcc_lo, 0, v13, vcc_lo
	s_or_b32 vcc_lo, s2, s1
	v_add_co_ci_u32_e32 v8, vcc_lo, 0, v8, vcc_lo
	v_cmp_gt_i32_e32 vcc_lo, 31, v12
	v_cndmask_b32_e32 v13, 0x7c00, v13, vcc_lo
	v_cmp_gt_i32_e32 vcc_lo, 31, v14
	v_cndmask_b32_e32 v8, 0x7c00, v8, vcc_lo
	v_cmp_eq_u32_e32 vcc_lo, 0x40f, v12
	v_cndmask_b32_e32 v6, v13, v6, vcc_lo
	v_cmp_eq_u32_e32 vcc_lo, 0x40f, v14
	v_and_or_b32 v6, 0x8000, v9, v6
	v_cndmask_b32_e32 v8, v8, v10, vcc_lo
	v_add_co_u32 v4, vcc_lo, v4, s4
	v_add_co_ci_u32_e32 v5, vcc_lo, s3, v5, vcc_lo
	v_and_or_b32 v8, 0x8000, v11, v8
	v_and_b32_e32 v6, 0xffff, v6
	v_lshl_or_b32 v6, v8, 16, v6
	v_lshrrev_b32_e32 v8, 16, v7
	global_store_dword v[4:5], v6, off
	global_load_dword v6, v[0:1], off offset:592
	s_waitcnt vmcnt(0)
	v_mul_f16_sdwa v9, v8, v6 dst_sel:DWORD dst_unused:UNUSED_PAD src0_sel:DWORD src1_sel:WORD_1
	v_mul_f16_sdwa v10, v7, v6 dst_sel:DWORD dst_unused:UNUSED_PAD src0_sel:DWORD src1_sel:WORD_1
	v_fmac_f16_e32 v9, v7, v6
	v_fma_f16 v6, v6, v8, -v10
	v_cvt_f32_f16_e32 v7, v9
	v_cvt_f32_f16_e32 v8, v6
	v_cvt_f64_f32_e32 v[6:7], v7
	v_cvt_f64_f32_e32 v[8:9], v8
	v_mul_f64 v[6:7], v[6:7], s[12:13]
	v_mul_f64 v[8:9], v[8:9], s[12:13]
	v_and_or_b32 v6, 0x1ff, v7, v6
	v_and_or_b32 v8, 0x1ff, v9, v8
	v_lshrrev_b32_e32 v10, 8, v7
	v_bfe_u32 v11, v7, 20, 11
	v_lshrrev_b32_e32 v12, 8, v9
	v_cmp_ne_u32_e32 vcc_lo, 0, v6
	v_bfe_u32 v13, v9, 20, 11
	v_lshrrev_b32_e32 v7, 16, v7
	v_sub_nc_u32_e32 v14, 0x3f1, v11
	v_add_nc_u32_e32 v11, 0xfffffc10, v11
	v_cndmask_b32_e64 v6, 0, 1, vcc_lo
	v_cmp_ne_u32_e32 vcc_lo, 0, v8
	v_lshrrev_b32_e32 v9, 16, v9
	v_and_or_b32 v6, 0xffe, v10, v6
	v_cndmask_b32_e64 v8, 0, 1, vcc_lo
	v_sub_nc_u32_e32 v10, 0x3f1, v13
	v_add_nc_u32_e32 v13, 0xfffffc10, v13
	v_and_or_b32 v8, 0xffe, v12, v8
	v_med3_i32 v12, v14, 0, 13
	v_or_b32_e32 v14, 0x1000, v6
	v_med3_i32 v10, v10, 0, 13
	v_or_b32_e32 v15, 0x1000, v8
	v_lshrrev_b32_e32 v16, v12, v14
	v_lshrrev_b32_e32 v17, v10, v15
	v_lshlrev_b32_e32 v12, v12, v16
	v_lshlrev_b32_e32 v10, v10, v17
	v_cmp_ne_u32_e32 vcc_lo, v12, v14
	v_lshl_or_b32 v14, v11, 12, v6
	v_cndmask_b32_e64 v12, 0, 1, vcc_lo
	v_cmp_ne_u32_e32 vcc_lo, v10, v15
	v_lshl_or_b32 v15, v13, 12, v8
	v_or_b32_e32 v12, v16, v12
	v_cndmask_b32_e64 v10, 0, 1, vcc_lo
	v_cmp_gt_i32_e32 vcc_lo, 1, v11
	v_or_b32_e32 v10, v17, v10
	v_cndmask_b32_e32 v12, v14, v12, vcc_lo
	v_cmp_gt_i32_e32 vcc_lo, 1, v13
	v_and_b32_e32 v14, 7, v12
	v_cndmask_b32_e32 v10, v15, v10, vcc_lo
	v_cmp_ne_u32_e32 vcc_lo, 0, v6
	v_lshrrev_b32_e32 v12, 2, v12
	v_cmp_eq_u32_e64 s0, 3, v14
	v_and_b32_e32 v15, 7, v10
	v_cndmask_b32_e64 v6, 0, 1, vcc_lo
	v_cmp_ne_u32_e32 vcc_lo, 0, v8
	v_lshrrev_b32_e32 v10, 2, v10
	v_cmp_lt_i32_e64 s1, 5, v15
	v_cmp_eq_u32_e64 s2, 3, v15
	v_cndmask_b32_e64 v8, 0, 1, vcc_lo
	v_cmp_lt_i32_e32 vcc_lo, 5, v14
	v_lshl_or_b32 v6, v6, 9, 0x7c00
	v_lshl_or_b32 v8, v8, 9, 0x7c00
	s_or_b32 vcc_lo, s0, vcc_lo
	v_add_co_ci_u32_e32 v12, vcc_lo, 0, v12, vcc_lo
	s_or_b32 vcc_lo, s2, s1
	v_add_co_ci_u32_e32 v10, vcc_lo, 0, v10, vcc_lo
	v_cmp_gt_i32_e32 vcc_lo, 31, v11
	v_cndmask_b32_e32 v12, 0x7c00, v12, vcc_lo
	v_cmp_gt_i32_e32 vcc_lo, 31, v13
	v_cndmask_b32_e32 v10, 0x7c00, v10, vcc_lo
	v_cmp_eq_u32_e32 vcc_lo, 0x40f, v11
	v_cndmask_b32_e32 v6, v12, v6, vcc_lo
	v_cmp_eq_u32_e32 vcc_lo, 0x40f, v13
	v_and_or_b32 v6, 0x8000, v7, v6
	v_cndmask_b32_e32 v8, v10, v8, vcc_lo
	v_add_co_u32 v4, vcc_lo, v4, s4
	v_add_co_ci_u32_e32 v5, vcc_lo, s3, v5, vcc_lo
	v_and_or_b32 v7, 0x8000, v9, v8
	v_and_b32_e32 v6, 0xffff, v6
	v_lshl_or_b32 v6, v7, 16, v6
	global_store_dword v[4:5], v6, off
	global_load_dword v8, v[0:1], off offset:856
	v_add_nc_u32_e32 v6, 0xa00, v38
	ds_read2_b32 v[6:7], v6 offset0:86 offset1:152
	s_waitcnt lgkmcnt(0)
	v_lshrrev_b32_e32 v9, 16, v6
	s_waitcnt vmcnt(0)
	v_mul_f16_sdwa v10, v9, v8 dst_sel:DWORD dst_unused:UNUSED_PAD src0_sel:DWORD src1_sel:WORD_1
	v_mul_f16_sdwa v11, v6, v8 dst_sel:DWORD dst_unused:UNUSED_PAD src0_sel:DWORD src1_sel:WORD_1
	v_fmac_f16_e32 v10, v6, v8
	v_fma_f16 v6, v8, v9, -v11
	v_cvt_f32_f16_e32 v8, v10
	v_cvt_f32_f16_e32 v6, v6
	v_cvt_f64_f32_e32 v[8:9], v8
	v_cvt_f64_f32_e32 v[10:11], v6
	v_mul_f64 v[8:9], v[8:9], s[12:13]
	v_mul_f64 v[10:11], v[10:11], s[12:13]
	v_and_or_b32 v6, 0x1ff, v9, v8
	v_and_or_b32 v10, 0x1ff, v11, v10
	v_lshrrev_b32_e32 v8, 8, v9
	v_bfe_u32 v12, v9, 20, 11
	v_lshrrev_b32_e32 v13, 8, v11
	v_cmp_ne_u32_e32 vcc_lo, 0, v6
	v_bfe_u32 v14, v11, 20, 11
	v_lshrrev_b32_e32 v9, 16, v9
	v_sub_nc_u32_e32 v15, 0x3f1, v12
	v_add_nc_u32_e32 v12, 0xfffffc10, v12
	v_cndmask_b32_e64 v6, 0, 1, vcc_lo
	v_cmp_ne_u32_e32 vcc_lo, 0, v10
	v_lshrrev_b32_e32 v11, 16, v11
	v_and_or_b32 v6, 0xffe, v8, v6
	v_cndmask_b32_e64 v10, 0, 1, vcc_lo
	v_sub_nc_u32_e32 v8, 0x3f1, v14
	v_add_nc_u32_e32 v14, 0xfffffc10, v14
	v_and_or_b32 v10, 0xffe, v13, v10
	v_med3_i32 v13, v15, 0, 13
	v_or_b32_e32 v15, 0x1000, v6
	v_med3_i32 v8, v8, 0, 13
	v_or_b32_e32 v16, 0x1000, v10
	v_lshrrev_b32_e32 v17, v13, v15
	v_lshrrev_b32_e32 v18, v8, v16
	v_lshlrev_b32_e32 v13, v13, v17
	v_lshlrev_b32_e32 v8, v8, v18
	v_cmp_ne_u32_e32 vcc_lo, v13, v15
	v_lshl_or_b32 v15, v12, 12, v6
	v_cndmask_b32_e64 v13, 0, 1, vcc_lo
	v_cmp_ne_u32_e32 vcc_lo, v8, v16
	v_lshl_or_b32 v16, v14, 12, v10
	v_or_b32_e32 v13, v17, v13
	v_cndmask_b32_e64 v8, 0, 1, vcc_lo
	v_cmp_gt_i32_e32 vcc_lo, 1, v12
	v_or_b32_e32 v8, v18, v8
	v_cndmask_b32_e32 v13, v15, v13, vcc_lo
	v_cmp_gt_i32_e32 vcc_lo, 1, v14
	v_and_b32_e32 v15, 7, v13
	v_cndmask_b32_e32 v8, v16, v8, vcc_lo
	v_cmp_ne_u32_e32 vcc_lo, 0, v6
	v_lshrrev_b32_e32 v13, 2, v13
	v_cmp_eq_u32_e64 s0, 3, v15
	v_and_b32_e32 v16, 7, v8
	v_cndmask_b32_e64 v6, 0, 1, vcc_lo
	v_cmp_ne_u32_e32 vcc_lo, 0, v10
	v_lshrrev_b32_e32 v8, 2, v8
	v_cmp_lt_i32_e64 s1, 5, v16
	v_cmp_eq_u32_e64 s2, 3, v16
	v_cndmask_b32_e64 v10, 0, 1, vcc_lo
	v_cmp_lt_i32_e32 vcc_lo, 5, v15
	v_lshl_or_b32 v6, v6, 9, 0x7c00
	v_lshl_or_b32 v10, v10, 9, 0x7c00
	s_or_b32 vcc_lo, s0, vcc_lo
	v_add_co_ci_u32_e32 v13, vcc_lo, 0, v13, vcc_lo
	s_or_b32 vcc_lo, s2, s1
	v_add_co_ci_u32_e32 v8, vcc_lo, 0, v8, vcc_lo
	v_cmp_gt_i32_e32 vcc_lo, 31, v12
	v_cndmask_b32_e32 v13, 0x7c00, v13, vcc_lo
	v_cmp_gt_i32_e32 vcc_lo, 31, v14
	v_cndmask_b32_e32 v8, 0x7c00, v8, vcc_lo
	v_cmp_eq_u32_e32 vcc_lo, 0x40f, v12
	v_cndmask_b32_e32 v6, v13, v6, vcc_lo
	v_cmp_eq_u32_e32 vcc_lo, 0x40f, v14
	v_and_or_b32 v6, 0x8000, v9, v6
	v_cndmask_b32_e32 v8, v8, v10, vcc_lo
	v_add_co_u32 v4, vcc_lo, v4, s4
	v_add_co_ci_u32_e32 v5, vcc_lo, s3, v5, vcc_lo
	v_and_or_b32 v8, 0x8000, v11, v8
	v_and_b32_e32 v6, 0xffff, v6
	v_lshl_or_b32 v6, v8, 16, v6
	v_lshrrev_b32_e32 v8, 16, v7
	global_store_dword v[4:5], v6, off
	global_load_dword v6, v[0:1], off offset:1120
	s_waitcnt vmcnt(0)
	v_mul_f16_sdwa v9, v8, v6 dst_sel:DWORD dst_unused:UNUSED_PAD src0_sel:DWORD src1_sel:WORD_1
	v_mul_f16_sdwa v10, v7, v6 dst_sel:DWORD dst_unused:UNUSED_PAD src0_sel:DWORD src1_sel:WORD_1
	v_fmac_f16_e32 v9, v7, v6
	v_fma_f16 v6, v6, v8, -v10
	v_cvt_f32_f16_e32 v7, v9
	v_cvt_f32_f16_e32 v8, v6
	v_cvt_f64_f32_e32 v[6:7], v7
	v_cvt_f64_f32_e32 v[8:9], v8
	v_mul_f64 v[6:7], v[6:7], s[12:13]
	v_mul_f64 v[8:9], v[8:9], s[12:13]
	v_and_or_b32 v6, 0x1ff, v7, v6
	v_and_or_b32 v8, 0x1ff, v9, v8
	v_lshrrev_b32_e32 v10, 8, v7
	v_bfe_u32 v11, v7, 20, 11
	v_lshrrev_b32_e32 v12, 8, v9
	v_cmp_ne_u32_e32 vcc_lo, 0, v6
	v_bfe_u32 v13, v9, 20, 11
	v_lshrrev_b32_e32 v7, 16, v7
	v_sub_nc_u32_e32 v14, 0x3f1, v11
	v_add_nc_u32_e32 v11, 0xfffffc10, v11
	v_cndmask_b32_e64 v6, 0, 1, vcc_lo
	v_cmp_ne_u32_e32 vcc_lo, 0, v8
	v_lshrrev_b32_e32 v9, 16, v9
	v_and_or_b32 v6, 0xffe, v10, v6
	v_cndmask_b32_e64 v8, 0, 1, vcc_lo
	v_sub_nc_u32_e32 v10, 0x3f1, v13
	v_add_nc_u32_e32 v13, 0xfffffc10, v13
	v_and_or_b32 v8, 0xffe, v12, v8
	v_med3_i32 v12, v14, 0, 13
	v_or_b32_e32 v14, 0x1000, v6
	v_med3_i32 v10, v10, 0, 13
	v_or_b32_e32 v15, 0x1000, v8
	v_lshrrev_b32_e32 v16, v12, v14
	v_lshrrev_b32_e32 v17, v10, v15
	v_lshlrev_b32_e32 v12, v12, v16
	v_lshlrev_b32_e32 v10, v10, v17
	v_cmp_ne_u32_e32 vcc_lo, v12, v14
	v_lshl_or_b32 v14, v11, 12, v6
	v_cndmask_b32_e64 v12, 0, 1, vcc_lo
	v_cmp_ne_u32_e32 vcc_lo, v10, v15
	v_lshl_or_b32 v15, v13, 12, v8
	v_or_b32_e32 v12, v16, v12
	v_cndmask_b32_e64 v10, 0, 1, vcc_lo
	v_cmp_gt_i32_e32 vcc_lo, 1, v11
	v_or_b32_e32 v10, v17, v10
	v_cndmask_b32_e32 v12, v14, v12, vcc_lo
	v_cmp_gt_i32_e32 vcc_lo, 1, v13
	v_and_b32_e32 v14, 7, v12
	v_cndmask_b32_e32 v10, v15, v10, vcc_lo
	v_cmp_ne_u32_e32 vcc_lo, 0, v6
	v_lshrrev_b32_e32 v12, 2, v12
	v_cmp_eq_u32_e64 s0, 3, v14
	v_and_b32_e32 v15, 7, v10
	v_cndmask_b32_e64 v6, 0, 1, vcc_lo
	v_cmp_ne_u32_e32 vcc_lo, 0, v8
	v_lshrrev_b32_e32 v10, 2, v10
	v_cmp_lt_i32_e64 s1, 5, v15
	v_cmp_eq_u32_e64 s2, 3, v15
	v_cndmask_b32_e64 v8, 0, 1, vcc_lo
	v_cmp_lt_i32_e32 vcc_lo, 5, v14
	v_lshl_or_b32 v6, v6, 9, 0x7c00
	v_lshl_or_b32 v8, v8, 9, 0x7c00
	s_or_b32 vcc_lo, s0, vcc_lo
	v_add_co_ci_u32_e32 v12, vcc_lo, 0, v12, vcc_lo
	s_or_b32 vcc_lo, s2, s1
	v_add_co_ci_u32_e32 v10, vcc_lo, 0, v10, vcc_lo
	v_cmp_gt_i32_e32 vcc_lo, 31, v11
	v_cndmask_b32_e32 v12, 0x7c00, v12, vcc_lo
	v_cmp_gt_i32_e32 vcc_lo, 31, v13
	v_cndmask_b32_e32 v10, 0x7c00, v10, vcc_lo
	v_cmp_eq_u32_e32 vcc_lo, 0x40f, v11
	v_cndmask_b32_e32 v6, v12, v6, vcc_lo
	v_cmp_eq_u32_e32 vcc_lo, 0x40f, v13
	v_and_or_b32 v6, 0x8000, v7, v6
	v_cndmask_b32_e32 v8, v10, v8, vcc_lo
	v_add_co_u32 v4, vcc_lo, v4, s4
	v_add_co_ci_u32_e32 v5, vcc_lo, s3, v5, vcc_lo
	v_and_or_b32 v7, 0x8000, v9, v8
	v_and_b32_e32 v6, 0xffff, v6
	v_lshl_or_b32 v6, v7, 16, v6
	global_store_dword v[4:5], v6, off
	global_load_dword v8, v[0:1], off offset:1384
	v_add_nc_u32_e32 v6, 0xc00, v38
	ds_read2_b32 v[6:7], v6 offset0:90 offset1:156
	s_waitcnt lgkmcnt(0)
	v_lshrrev_b32_e32 v9, 16, v6
	s_waitcnt vmcnt(0)
	v_mul_f16_sdwa v10, v9, v8 dst_sel:DWORD dst_unused:UNUSED_PAD src0_sel:DWORD src1_sel:WORD_1
	v_mul_f16_sdwa v11, v6, v8 dst_sel:DWORD dst_unused:UNUSED_PAD src0_sel:DWORD src1_sel:WORD_1
	v_fmac_f16_e32 v10, v6, v8
	v_fma_f16 v6, v8, v9, -v11
	v_cvt_f32_f16_e32 v8, v10
	v_cvt_f32_f16_e32 v6, v6
	v_cvt_f64_f32_e32 v[8:9], v8
	v_cvt_f64_f32_e32 v[10:11], v6
	v_mul_f64 v[8:9], v[8:9], s[12:13]
	v_mul_f64 v[10:11], v[10:11], s[12:13]
	v_and_or_b32 v6, 0x1ff, v9, v8
	v_and_or_b32 v10, 0x1ff, v11, v10
	v_lshrrev_b32_e32 v8, 8, v9
	v_bfe_u32 v12, v9, 20, 11
	v_lshrrev_b32_e32 v13, 8, v11
	v_cmp_ne_u32_e32 vcc_lo, 0, v6
	v_bfe_u32 v14, v11, 20, 11
	v_lshrrev_b32_e32 v9, 16, v9
	v_sub_nc_u32_e32 v15, 0x3f1, v12
	v_add_nc_u32_e32 v12, 0xfffffc10, v12
	v_cndmask_b32_e64 v6, 0, 1, vcc_lo
	v_cmp_ne_u32_e32 vcc_lo, 0, v10
	v_lshrrev_b32_e32 v11, 16, v11
	v_and_or_b32 v6, 0xffe, v8, v6
	v_cndmask_b32_e64 v10, 0, 1, vcc_lo
	v_sub_nc_u32_e32 v8, 0x3f1, v14
	v_add_nc_u32_e32 v14, 0xfffffc10, v14
	v_and_or_b32 v10, 0xffe, v13, v10
	v_med3_i32 v13, v15, 0, 13
	v_or_b32_e32 v15, 0x1000, v6
	v_med3_i32 v8, v8, 0, 13
	v_or_b32_e32 v16, 0x1000, v10
	v_lshrrev_b32_e32 v17, v13, v15
	v_lshrrev_b32_e32 v18, v8, v16
	v_lshlrev_b32_e32 v13, v13, v17
	v_lshlrev_b32_e32 v8, v8, v18
	v_cmp_ne_u32_e32 vcc_lo, v13, v15
	v_lshl_or_b32 v15, v12, 12, v6
	v_cndmask_b32_e64 v13, 0, 1, vcc_lo
	v_cmp_ne_u32_e32 vcc_lo, v8, v16
	v_lshl_or_b32 v16, v14, 12, v10
	v_or_b32_e32 v13, v17, v13
	v_cndmask_b32_e64 v8, 0, 1, vcc_lo
	v_cmp_gt_i32_e32 vcc_lo, 1, v12
	v_or_b32_e32 v8, v18, v8
	v_cndmask_b32_e32 v13, v15, v13, vcc_lo
	v_cmp_gt_i32_e32 vcc_lo, 1, v14
	v_and_b32_e32 v15, 7, v13
	v_cndmask_b32_e32 v8, v16, v8, vcc_lo
	v_cmp_ne_u32_e32 vcc_lo, 0, v6
	v_lshrrev_b32_e32 v13, 2, v13
	v_cmp_eq_u32_e64 s0, 3, v15
	v_and_b32_e32 v16, 7, v8
	v_cndmask_b32_e64 v6, 0, 1, vcc_lo
	v_cmp_ne_u32_e32 vcc_lo, 0, v10
	v_lshrrev_b32_e32 v8, 2, v8
	v_cmp_lt_i32_e64 s1, 5, v16
	v_cmp_eq_u32_e64 s2, 3, v16
	v_cndmask_b32_e64 v10, 0, 1, vcc_lo
	v_cmp_lt_i32_e32 vcc_lo, 5, v15
	v_lshl_or_b32 v6, v6, 9, 0x7c00
	v_lshl_or_b32 v10, v10, 9, 0x7c00
	s_or_b32 vcc_lo, s0, vcc_lo
	v_add_co_ci_u32_e32 v13, vcc_lo, 0, v13, vcc_lo
	s_or_b32 vcc_lo, s2, s1
	v_add_co_ci_u32_e32 v8, vcc_lo, 0, v8, vcc_lo
	v_cmp_gt_i32_e32 vcc_lo, 31, v12
	v_cndmask_b32_e32 v13, 0x7c00, v13, vcc_lo
	v_cmp_gt_i32_e32 vcc_lo, 31, v14
	v_cndmask_b32_e32 v8, 0x7c00, v8, vcc_lo
	v_cmp_eq_u32_e32 vcc_lo, 0x40f, v12
	v_cndmask_b32_e32 v6, v13, v6, vcc_lo
	v_cmp_eq_u32_e32 vcc_lo, 0x40f, v14
	v_and_or_b32 v6, 0x8000, v9, v6
	v_cndmask_b32_e32 v8, v8, v10, vcc_lo
	v_add_co_u32 v4, vcc_lo, v4, s4
	v_add_co_ci_u32_e32 v5, vcc_lo, s3, v5, vcc_lo
	v_and_or_b32 v8, 0x8000, v11, v8
	v_and_b32_e32 v6, 0xffff, v6
	v_lshl_or_b32 v6, v8, 16, v6
	v_lshrrev_b32_e32 v8, 16, v7
	global_store_dword v[4:5], v6, off
	global_load_dword v6, v[0:1], off offset:1648
	s_waitcnt vmcnt(0)
	v_mul_f16_sdwa v9, v8, v6 dst_sel:DWORD dst_unused:UNUSED_PAD src0_sel:DWORD src1_sel:WORD_1
	v_mul_f16_sdwa v10, v7, v6 dst_sel:DWORD dst_unused:UNUSED_PAD src0_sel:DWORD src1_sel:WORD_1
	v_fmac_f16_e32 v9, v7, v6
	v_fma_f16 v6, v6, v8, -v10
	v_cvt_f32_f16_e32 v7, v9
	v_cvt_f32_f16_e32 v8, v6
	v_cvt_f64_f32_e32 v[6:7], v7
	v_cvt_f64_f32_e32 v[8:9], v8
	v_mul_f64 v[6:7], v[6:7], s[12:13]
	v_mul_f64 v[8:9], v[8:9], s[12:13]
	v_and_or_b32 v6, 0x1ff, v7, v6
	v_and_or_b32 v8, 0x1ff, v9, v8
	v_lshrrev_b32_e32 v10, 8, v7
	v_bfe_u32 v11, v7, 20, 11
	v_lshrrev_b32_e32 v12, 8, v9
	v_cmp_ne_u32_e32 vcc_lo, 0, v6
	v_bfe_u32 v13, v9, 20, 11
	v_lshrrev_b32_e32 v7, 16, v7
	v_sub_nc_u32_e32 v14, 0x3f1, v11
	v_add_nc_u32_e32 v11, 0xfffffc10, v11
	v_cndmask_b32_e64 v6, 0, 1, vcc_lo
	v_cmp_ne_u32_e32 vcc_lo, 0, v8
	v_lshrrev_b32_e32 v9, 16, v9
	v_and_or_b32 v6, 0xffe, v10, v6
	v_cndmask_b32_e64 v8, 0, 1, vcc_lo
	v_sub_nc_u32_e32 v10, 0x3f1, v13
	v_add_nc_u32_e32 v13, 0xfffffc10, v13
	v_and_or_b32 v8, 0xffe, v12, v8
	v_med3_i32 v12, v14, 0, 13
	v_or_b32_e32 v14, 0x1000, v6
	v_med3_i32 v10, v10, 0, 13
	v_or_b32_e32 v15, 0x1000, v8
	v_lshrrev_b32_e32 v16, v12, v14
	v_lshrrev_b32_e32 v17, v10, v15
	v_lshlrev_b32_e32 v12, v12, v16
	v_lshlrev_b32_e32 v10, v10, v17
	v_cmp_ne_u32_e32 vcc_lo, v12, v14
	v_lshl_or_b32 v14, v11, 12, v6
	v_cndmask_b32_e64 v12, 0, 1, vcc_lo
	v_cmp_ne_u32_e32 vcc_lo, v10, v15
	v_lshl_or_b32 v15, v13, 12, v8
	v_or_b32_e32 v12, v16, v12
	v_cndmask_b32_e64 v10, 0, 1, vcc_lo
	v_cmp_gt_i32_e32 vcc_lo, 1, v11
	v_or_b32_e32 v10, v17, v10
	v_cndmask_b32_e32 v12, v14, v12, vcc_lo
	v_cmp_gt_i32_e32 vcc_lo, 1, v13
	v_and_b32_e32 v14, 7, v12
	v_cndmask_b32_e32 v10, v15, v10, vcc_lo
	v_cmp_ne_u32_e32 vcc_lo, 0, v6
	v_lshrrev_b32_e32 v12, 2, v12
	v_cmp_eq_u32_e64 s0, 3, v14
	v_and_b32_e32 v15, 7, v10
	v_cndmask_b32_e64 v6, 0, 1, vcc_lo
	v_cmp_ne_u32_e32 vcc_lo, 0, v8
	v_lshrrev_b32_e32 v10, 2, v10
	v_cmp_lt_i32_e64 s1, 5, v15
	v_cmp_eq_u32_e64 s2, 3, v15
	v_cndmask_b32_e64 v8, 0, 1, vcc_lo
	v_cmp_lt_i32_e32 vcc_lo, 5, v14
	v_lshl_or_b32 v6, v6, 9, 0x7c00
	v_lshl_or_b32 v8, v8, 9, 0x7c00
	s_or_b32 vcc_lo, s0, vcc_lo
	v_add_co_ci_u32_e32 v12, vcc_lo, 0, v12, vcc_lo
	s_or_b32 vcc_lo, s2, s1
	v_add_co_ci_u32_e32 v10, vcc_lo, 0, v10, vcc_lo
	v_cmp_gt_i32_e32 vcc_lo, 31, v11
	v_cndmask_b32_e32 v12, 0x7c00, v12, vcc_lo
	v_cmp_gt_i32_e32 vcc_lo, 31, v13
	v_cndmask_b32_e32 v10, 0x7c00, v10, vcc_lo
	v_cmp_eq_u32_e32 vcc_lo, 0x40f, v11
	v_cndmask_b32_e32 v6, v12, v6, vcc_lo
	v_cmp_eq_u32_e32 vcc_lo, 0x40f, v13
	v_and_or_b32 v6, 0x8000, v7, v6
	v_cndmask_b32_e32 v8, v10, v8, vcc_lo
	v_add_co_u32 v4, vcc_lo, v4, s4
	v_add_co_ci_u32_e32 v5, vcc_lo, s3, v5, vcc_lo
	v_and_or_b32 v7, 0x8000, v9, v8
	v_and_b32_e32 v6, 0xffff, v6
	v_lshl_or_b32 v6, v7, 16, v6
	global_store_dword v[4:5], v6, off
	global_load_dword v6, v[0:1], off offset:1912
	v_add_nc_u32_e32 v0, 0xe00, v38
	ds_read2_b32 v[0:1], v0 offset0:94 offset1:160
	s_waitcnt lgkmcnt(0)
	v_lshrrev_b32_e32 v7, 16, v0
	s_waitcnt vmcnt(0)
	v_mul_f16_sdwa v8, v7, v6 dst_sel:DWORD dst_unused:UNUSED_PAD src0_sel:DWORD src1_sel:WORD_1
	v_mul_f16_sdwa v9, v0, v6 dst_sel:DWORD dst_unused:UNUSED_PAD src0_sel:DWORD src1_sel:WORD_1
	v_fmac_f16_e32 v8, v0, v6
	v_fma_f16 v0, v6, v7, -v9
	v_cvt_f32_f16_e32 v6, v8
	v_cvt_f32_f16_e32 v0, v0
	v_cvt_f64_f32_e32 v[6:7], v6
	v_cvt_f64_f32_e32 v[8:9], v0
	v_mul_f64 v[6:7], v[6:7], s[12:13]
	v_mul_f64 v[8:9], v[8:9], s[12:13]
	v_and_or_b32 v0, 0x1ff, v7, v6
	v_and_or_b32 v8, 0x1ff, v9, v8
	v_lshrrev_b32_e32 v6, 8, v7
	v_bfe_u32 v10, v7, 20, 11
	v_lshrrev_b32_e32 v11, 8, v9
	v_cmp_ne_u32_e32 vcc_lo, 0, v0
	v_bfe_u32 v12, v9, 20, 11
	v_lshrrev_b32_e32 v7, 16, v7
	v_sub_nc_u32_e32 v13, 0x3f1, v10
	v_add_nc_u32_e32 v10, 0xfffffc10, v10
	v_cndmask_b32_e64 v0, 0, 1, vcc_lo
	v_cmp_ne_u32_e32 vcc_lo, 0, v8
	v_lshrrev_b32_e32 v9, 16, v9
	v_and_or_b32 v0, 0xffe, v6, v0
	v_cndmask_b32_e64 v8, 0, 1, vcc_lo
	v_sub_nc_u32_e32 v6, 0x3f1, v12
	v_add_nc_u32_e32 v12, 0xfffffc10, v12
	v_and_or_b32 v8, 0xffe, v11, v8
	v_med3_i32 v11, v13, 0, 13
	v_or_b32_e32 v13, 0x1000, v0
	v_med3_i32 v6, v6, 0, 13
	v_or_b32_e32 v14, 0x1000, v8
	v_lshrrev_b32_e32 v15, v11, v13
	v_lshrrev_b32_e32 v16, v6, v14
	v_lshlrev_b32_e32 v11, v11, v15
	v_lshlrev_b32_e32 v6, v6, v16
	v_cmp_ne_u32_e32 vcc_lo, v11, v13
	v_lshl_or_b32 v13, v10, 12, v0
	v_cndmask_b32_e64 v11, 0, 1, vcc_lo
	v_cmp_ne_u32_e32 vcc_lo, v6, v14
	v_lshl_or_b32 v14, v12, 12, v8
	v_or_b32_e32 v11, v15, v11
	v_cndmask_b32_e64 v6, 0, 1, vcc_lo
	v_cmp_gt_i32_e32 vcc_lo, 1, v10
	v_or_b32_e32 v6, v16, v6
	v_cndmask_b32_e32 v11, v13, v11, vcc_lo
	v_cmp_gt_i32_e32 vcc_lo, 1, v12
	v_and_b32_e32 v13, 7, v11
	v_cndmask_b32_e32 v6, v14, v6, vcc_lo
	v_cmp_ne_u32_e32 vcc_lo, 0, v0
	v_lshrrev_b32_e32 v11, 2, v11
	v_cmp_eq_u32_e64 s0, 3, v13
	v_and_b32_e32 v14, 7, v6
	v_cndmask_b32_e64 v0, 0, 1, vcc_lo
	v_cmp_ne_u32_e32 vcc_lo, 0, v8
	v_lshrrev_b32_e32 v6, 2, v6
	v_cmp_lt_i32_e64 s1, 5, v14
	v_cmp_eq_u32_e64 s2, 3, v14
	v_cndmask_b32_e64 v8, 0, 1, vcc_lo
	v_cmp_lt_i32_e32 vcc_lo, 5, v13
	v_lshl_or_b32 v0, v0, 9, 0x7c00
	v_lshl_or_b32 v8, v8, 9, 0x7c00
	s_or_b32 vcc_lo, s0, vcc_lo
	v_add_co_ci_u32_e32 v11, vcc_lo, 0, v11, vcc_lo
	s_or_b32 vcc_lo, s2, s1
	v_add_co_ci_u32_e32 v6, vcc_lo, 0, v6, vcc_lo
	v_cmp_gt_i32_e32 vcc_lo, 31, v10
	v_cndmask_b32_e32 v11, 0x7c00, v11, vcc_lo
	v_cmp_gt_i32_e32 vcc_lo, 31, v12
	v_cndmask_b32_e32 v6, 0x7c00, v6, vcc_lo
	v_cmp_eq_u32_e32 vcc_lo, 0x40f, v10
	v_cndmask_b32_e32 v0, v11, v0, vcc_lo
	v_cmp_eq_u32_e32 vcc_lo, 0x40f, v12
	v_and_or_b32 v0, 0x8000, v7, v0
	v_cndmask_b32_e32 v6, v6, v8, vcc_lo
	v_add_co_u32 v4, vcc_lo, v4, s4
	v_add_co_ci_u32_e32 v5, vcc_lo, s3, v5, vcc_lo
	v_and_or_b32 v6, 0x8000, v9, v6
	v_and_b32_e32 v0, 0xffff, v0
	v_add_co_u32 v2, vcc_lo, 0x1000, v2
	v_add_co_ci_u32_e32 v3, vcc_lo, 0, v3, vcc_lo
	v_lshl_or_b32 v0, v6, 16, v0
	global_store_dword v[4:5], v0, off
	global_load_dword v0, v[2:3], off offset:128
	v_lshrrev_b32_e32 v2, 16, v1
	s_waitcnt vmcnt(0)
	v_mul_f16_sdwa v3, v2, v0 dst_sel:DWORD dst_unused:UNUSED_PAD src0_sel:DWORD src1_sel:WORD_1
	v_mul_f16_sdwa v6, v1, v0 dst_sel:DWORD dst_unused:UNUSED_PAD src0_sel:DWORD src1_sel:WORD_1
	v_fmac_f16_e32 v3, v1, v0
	v_fma_f16 v0, v0, v2, -v6
	v_cvt_f32_f16_e32 v1, v3
	v_cvt_f32_f16_e32 v2, v0
	v_cvt_f64_f32_e32 v[0:1], v1
	v_cvt_f64_f32_e32 v[2:3], v2
	v_mul_f64 v[0:1], v[0:1], s[12:13]
	v_mul_f64 v[2:3], v[2:3], s[12:13]
	v_and_or_b32 v0, 0x1ff, v1, v0
	v_and_or_b32 v2, 0x1ff, v3, v2
	v_lshrrev_b32_e32 v6, 8, v1
	v_bfe_u32 v7, v1, 20, 11
	v_lshrrev_b32_e32 v8, 8, v3
	v_cmp_ne_u32_e32 vcc_lo, 0, v0
	v_bfe_u32 v9, v3, 20, 11
	v_lshrrev_b32_e32 v1, 16, v1
	v_sub_nc_u32_e32 v10, 0x3f1, v7
	v_add_nc_u32_e32 v7, 0xfffffc10, v7
	v_cndmask_b32_e64 v0, 0, 1, vcc_lo
	v_cmp_ne_u32_e32 vcc_lo, 0, v2
	v_lshrrev_b32_e32 v3, 16, v3
	v_and_or_b32 v0, 0xffe, v6, v0
	v_cndmask_b32_e64 v2, 0, 1, vcc_lo
	v_sub_nc_u32_e32 v6, 0x3f1, v9
	v_add_nc_u32_e32 v9, 0xfffffc10, v9
	v_and_or_b32 v2, 0xffe, v8, v2
	v_med3_i32 v8, v10, 0, 13
	v_or_b32_e32 v10, 0x1000, v0
	v_med3_i32 v6, v6, 0, 13
	v_or_b32_e32 v11, 0x1000, v2
	v_lshrrev_b32_e32 v12, v8, v10
	v_lshrrev_b32_e32 v13, v6, v11
	v_lshlrev_b32_e32 v8, v8, v12
	v_lshlrev_b32_e32 v6, v6, v13
	v_cmp_ne_u32_e32 vcc_lo, v8, v10
	v_lshl_or_b32 v10, v7, 12, v0
	v_cndmask_b32_e64 v8, 0, 1, vcc_lo
	v_cmp_ne_u32_e32 vcc_lo, v6, v11
	v_lshl_or_b32 v11, v9, 12, v2
	v_or_b32_e32 v8, v12, v8
	v_cndmask_b32_e64 v6, 0, 1, vcc_lo
	v_cmp_gt_i32_e32 vcc_lo, 1, v7
	v_or_b32_e32 v6, v13, v6
	v_cndmask_b32_e32 v8, v10, v8, vcc_lo
	v_cmp_gt_i32_e32 vcc_lo, 1, v9
	v_and_b32_e32 v10, 7, v8
	v_cndmask_b32_e32 v6, v11, v6, vcc_lo
	v_cmp_ne_u32_e32 vcc_lo, 0, v0
	v_lshrrev_b32_e32 v8, 2, v8
	v_cmp_eq_u32_e64 s0, 3, v10
	v_and_b32_e32 v11, 7, v6
	v_cndmask_b32_e64 v0, 0, 1, vcc_lo
	v_cmp_ne_u32_e32 vcc_lo, 0, v2
	v_lshrrev_b32_e32 v6, 2, v6
	v_cmp_lt_i32_e64 s1, 5, v11
	v_cmp_eq_u32_e64 s2, 3, v11
	v_cndmask_b32_e64 v2, 0, 1, vcc_lo
	v_cmp_lt_i32_e32 vcc_lo, 5, v10
	v_lshl_or_b32 v0, v0, 9, 0x7c00
	v_lshl_or_b32 v2, v2, 9, 0x7c00
	s_or_b32 vcc_lo, s0, vcc_lo
	v_add_co_ci_u32_e32 v8, vcc_lo, 0, v8, vcc_lo
	s_or_b32 vcc_lo, s2, s1
	v_add_co_ci_u32_e32 v6, vcc_lo, 0, v6, vcc_lo
	v_cmp_gt_i32_e32 vcc_lo, 31, v7
	v_cndmask_b32_e32 v8, 0x7c00, v8, vcc_lo
	v_cmp_gt_i32_e32 vcc_lo, 31, v9
	v_cndmask_b32_e32 v6, 0x7c00, v6, vcc_lo
	v_cmp_eq_u32_e32 vcc_lo, 0x40f, v7
	v_cndmask_b32_e32 v0, v8, v0, vcc_lo
	v_cmp_eq_u32_e32 vcc_lo, 0x40f, v9
	v_and_or_b32 v0, 0x8000, v1, v0
	v_cndmask_b32_e32 v2, v6, v2, vcc_lo
	v_and_b32_e32 v0, 0xffff, v0
	v_and_or_b32 v1, 0x8000, v3, v2
	v_lshl_or_b32 v2, v1, 16, v0
	v_add_co_u32 v0, vcc_lo, v4, s4
	v_add_co_ci_u32_e32 v1, vcc_lo, s3, v5, vcc_lo
	global_store_dword v[0:1], v2, off
.LBB0_23:
	s_endpgm
	.section	.rodata,"a",@progbits
	.p2align	6, 0x0
	.amdhsa_kernel bluestein_single_back_len1122_dim1_half_op_CI_CI
		.amdhsa_group_segment_fixed_size 8976
		.amdhsa_private_segment_fixed_size 0
		.amdhsa_kernarg_size 104
		.amdhsa_user_sgpr_count 6
		.amdhsa_user_sgpr_private_segment_buffer 1
		.amdhsa_user_sgpr_dispatch_ptr 0
		.amdhsa_user_sgpr_queue_ptr 0
		.amdhsa_user_sgpr_kernarg_segment_ptr 1
		.amdhsa_user_sgpr_dispatch_id 0
		.amdhsa_user_sgpr_flat_scratch_init 0
		.amdhsa_user_sgpr_private_segment_size 0
		.amdhsa_wavefront_size32 1
		.amdhsa_uses_dynamic_stack 0
		.amdhsa_system_sgpr_private_segment_wavefront_offset 0
		.amdhsa_system_sgpr_workgroup_id_x 1
		.amdhsa_system_sgpr_workgroup_id_y 0
		.amdhsa_system_sgpr_workgroup_id_z 0
		.amdhsa_system_sgpr_workgroup_info 0
		.amdhsa_system_vgpr_workitem_id 0
		.amdhsa_next_free_vgpr 197
		.amdhsa_next_free_sgpr 16
		.amdhsa_reserve_vcc 1
		.amdhsa_reserve_flat_scratch 0
		.amdhsa_float_round_mode_32 0
		.amdhsa_float_round_mode_16_64 0
		.amdhsa_float_denorm_mode_32 3
		.amdhsa_float_denorm_mode_16_64 3
		.amdhsa_dx10_clamp 1
		.amdhsa_ieee_mode 1
		.amdhsa_fp16_overflow 0
		.amdhsa_workgroup_processor_mode 1
		.amdhsa_memory_ordered 1
		.amdhsa_forward_progress 0
		.amdhsa_shared_vgpr_count 0
		.amdhsa_exception_fp_ieee_invalid_op 0
		.amdhsa_exception_fp_denorm_src 0
		.amdhsa_exception_fp_ieee_div_zero 0
		.amdhsa_exception_fp_ieee_overflow 0
		.amdhsa_exception_fp_ieee_underflow 0
		.amdhsa_exception_fp_ieee_inexact 0
		.amdhsa_exception_int_div_zero 0
	.end_amdhsa_kernel
	.text
.Lfunc_end0:
	.size	bluestein_single_back_len1122_dim1_half_op_CI_CI, .Lfunc_end0-bluestein_single_back_len1122_dim1_half_op_CI_CI
                                        ; -- End function
	.section	.AMDGPU.csdata,"",@progbits
; Kernel info:
; codeLenInByte = 30900
; NumSgprs: 18
; NumVgprs: 197
; ScratchSize: 0
; MemoryBound: 0
; FloatMode: 240
; IeeeMode: 1
; LDSByteSize: 8976 bytes/workgroup (compile time only)
; SGPRBlocks: 2
; VGPRBlocks: 24
; NumSGPRsForWavesPerEU: 18
; NumVGPRsForWavesPerEU: 197
; Occupancy: 4
; WaveLimiterHint : 1
; COMPUTE_PGM_RSRC2:SCRATCH_EN: 0
; COMPUTE_PGM_RSRC2:USER_SGPR: 6
; COMPUTE_PGM_RSRC2:TRAP_HANDLER: 0
; COMPUTE_PGM_RSRC2:TGID_X_EN: 1
; COMPUTE_PGM_RSRC2:TGID_Y_EN: 0
; COMPUTE_PGM_RSRC2:TGID_Z_EN: 0
; COMPUTE_PGM_RSRC2:TIDIG_COMP_CNT: 0
	.text
	.p2alignl 6, 3214868480
	.fill 48, 4, 3214868480
	.type	__hip_cuid_9799dde95de6ab5c,@object ; @__hip_cuid_9799dde95de6ab5c
	.section	.bss,"aw",@nobits
	.globl	__hip_cuid_9799dde95de6ab5c
__hip_cuid_9799dde95de6ab5c:
	.byte	0                               ; 0x0
	.size	__hip_cuid_9799dde95de6ab5c, 1

	.ident	"AMD clang version 19.0.0git (https://github.com/RadeonOpenCompute/llvm-project roc-6.4.0 25133 c7fe45cf4b819c5991fe208aaa96edf142730f1d)"
	.section	".note.GNU-stack","",@progbits
	.addrsig
	.addrsig_sym __hip_cuid_9799dde95de6ab5c
	.amdgpu_metadata
---
amdhsa.kernels:
  - .args:
      - .actual_access:  read_only
        .address_space:  global
        .offset:         0
        .size:           8
        .value_kind:     global_buffer
      - .actual_access:  read_only
        .address_space:  global
        .offset:         8
        .size:           8
        .value_kind:     global_buffer
      - .actual_access:  read_only
        .address_space:  global
        .offset:         16
        .size:           8
        .value_kind:     global_buffer
      - .actual_access:  read_only
        .address_space:  global
        .offset:         24
        .size:           8
        .value_kind:     global_buffer
      - .actual_access:  read_only
        .address_space:  global
        .offset:         32
        .size:           8
        .value_kind:     global_buffer
      - .offset:         40
        .size:           8
        .value_kind:     by_value
      - .address_space:  global
        .offset:         48
        .size:           8
        .value_kind:     global_buffer
      - .address_space:  global
        .offset:         56
        .size:           8
        .value_kind:     global_buffer
      - .address_space:  global
        .offset:         64
        .size:           8
        .value_kind:     global_buffer
      - .address_space:  global
        .offset:         72
        .size:           8
        .value_kind:     global_buffer
      - .offset:         80
        .size:           4
        .value_kind:     by_value
      - .address_space:  global
        .offset:         88
        .size:           8
        .value_kind:     global_buffer
      - .address_space:  global
        .offset:         96
        .size:           8
        .value_kind:     global_buffer
    .group_segment_fixed_size: 8976
    .kernarg_segment_align: 8
    .kernarg_segment_size: 104
    .language:       OpenCL C
    .language_version:
      - 2
      - 0
    .max_flat_workgroup_size: 204
    .name:           bluestein_single_back_len1122_dim1_half_op_CI_CI
    .private_segment_fixed_size: 0
    .sgpr_count:     18
    .sgpr_spill_count: 0
    .symbol:         bluestein_single_back_len1122_dim1_half_op_CI_CI.kd
    .uniform_work_group_size: 1
    .uses_dynamic_stack: false
    .vgpr_count:     197
    .vgpr_spill_count: 0
    .wavefront_size: 32
    .workgroup_processor_mode: 1
amdhsa.target:   amdgcn-amd-amdhsa--gfx1030
amdhsa.version:
  - 1
  - 2
...

	.end_amdgpu_metadata
